;; amdgpu-corpus repo=ROCm/rocFFT kind=compiled arch=gfx950 opt=O3
	.text
	.amdgcn_target "amdgcn-amd-amdhsa--gfx950"
	.amdhsa_code_object_version 6
	.protected	fft_rtc_fwd_len4050_factors_10_5_3_3_3_3_wgs_135_tpt_135_halfLds_dp_ip_CI_sbrr_dirReg ; -- Begin function fft_rtc_fwd_len4050_factors_10_5_3_3_3_3_wgs_135_tpt_135_halfLds_dp_ip_CI_sbrr_dirReg
	.globl	fft_rtc_fwd_len4050_factors_10_5_3_3_3_3_wgs_135_tpt_135_halfLds_dp_ip_CI_sbrr_dirReg
	.p2align	8
	.type	fft_rtc_fwd_len4050_factors_10_5_3_3_3_3_wgs_135_tpt_135_halfLds_dp_ip_CI_sbrr_dirReg,@function
fft_rtc_fwd_len4050_factors_10_5_3_3_3_3_wgs_135_tpt_135_halfLds_dp_ip_CI_sbrr_dirReg: ; @fft_rtc_fwd_len4050_factors_10_5_3_3_3_3_wgs_135_tpt_135_halfLds_dp_ip_CI_sbrr_dirReg
; %bb.0:
	s_load_dwordx2 s[12:13], s[0:1], 0x18
	s_load_dwordx4 s[4:7], s[0:1], 0x0
	s_load_dwordx2 s[10:11], s[0:1], 0x50
	v_mul_u32_u24_e32 v1, 0x1e6, v0
	v_add_u32_sdwa v6, s2, v1 dst_sel:DWORD dst_unused:UNUSED_PAD src0_sel:DWORD src1_sel:WORD_1
	s_waitcnt lgkmcnt(0)
	s_load_dwordx2 s[8:9], s[12:13], 0x0
	v_mov_b32_e32 v4, 0
	v_cmp_lt_u64_e64 s[2:3], s[6:7], 2
	v_mov_b32_e32 v7, v4
	s_and_b64 vcc, exec, s[2:3]
	v_mov_b64_e32 v[2:3], 0
	s_cbranch_vccnz .LBB0_8
; %bb.1:
	s_load_dwordx2 s[2:3], s[0:1], 0x10
	s_add_u32 s14, s12, 8
	s_addc_u32 s15, s13, 0
	s_mov_b64 s[16:17], 1
	v_mov_b64_e32 v[2:3], 0
	s_waitcnt lgkmcnt(0)
	s_add_u32 s18, s2, 8
	s_addc_u32 s19, s3, 0
.LBB0_2:                                ; =>This Inner Loop Header: Depth=1
	s_load_dwordx2 s[20:21], s[18:19], 0x0
                                        ; implicit-def: $vgpr8_vgpr9
	s_waitcnt lgkmcnt(0)
	v_or_b32_e32 v5, s21, v7
	v_cmp_ne_u64_e32 vcc, 0, v[4:5]
	s_and_saveexec_b64 s[2:3], vcc
	s_xor_b64 s[22:23], exec, s[2:3]
	s_cbranch_execz .LBB0_4
; %bb.3:                                ;   in Loop: Header=BB0_2 Depth=1
	v_cvt_f32_u32_e32 v1, s20
	v_cvt_f32_u32_e32 v5, s21
	s_sub_u32 s2, 0, s20
	s_subb_u32 s3, 0, s21
	v_fmac_f32_e32 v1, 0x4f800000, v5
	v_rcp_f32_e32 v1, v1
	s_nop 0
	v_mul_f32_e32 v1, 0x5f7ffffc, v1
	v_mul_f32_e32 v5, 0x2f800000, v1
	v_trunc_f32_e32 v5, v5
	v_fmac_f32_e32 v1, 0xcf800000, v5
	v_cvt_u32_f32_e32 v5, v5
	v_cvt_u32_f32_e32 v1, v1
	v_mul_lo_u32 v8, s2, v5
	v_mul_hi_u32 v10, s2, v1
	v_mul_lo_u32 v9, s3, v1
	v_add_u32_e32 v10, v10, v8
	v_mul_lo_u32 v12, s2, v1
	v_add_u32_e32 v13, v10, v9
	v_mul_hi_u32 v8, v1, v12
	v_mul_hi_u32 v11, v1, v13
	v_mul_lo_u32 v10, v1, v13
	v_mov_b32_e32 v9, v4
	v_lshl_add_u64 v[8:9], v[8:9], 0, v[10:11]
	v_mul_hi_u32 v11, v5, v12
	v_mul_lo_u32 v12, v5, v12
	v_add_co_u32_e32 v8, vcc, v8, v12
	v_mul_hi_u32 v10, v5, v13
	s_nop 0
	v_addc_co_u32_e32 v8, vcc, v9, v11, vcc
	v_mov_b32_e32 v9, v4
	s_nop 0
	v_addc_co_u32_e32 v11, vcc, 0, v10, vcc
	v_mul_lo_u32 v10, v5, v13
	v_lshl_add_u64 v[8:9], v[8:9], 0, v[10:11]
	v_add_co_u32_e32 v1, vcc, v1, v8
	v_mul_lo_u32 v10, s2, v1
	s_nop 0
	v_addc_co_u32_e32 v5, vcc, v5, v9, vcc
	v_mul_lo_u32 v8, s2, v5
	v_mul_hi_u32 v9, s2, v1
	v_add_u32_e32 v8, v9, v8
	v_mul_lo_u32 v9, s3, v1
	v_add_u32_e32 v12, v8, v9
	v_mul_hi_u32 v14, v5, v10
	v_mul_lo_u32 v15, v5, v10
	v_mul_hi_u32 v9, v1, v12
	v_mul_lo_u32 v8, v1, v12
	v_mul_hi_u32 v10, v1, v10
	v_mov_b32_e32 v11, v4
	v_lshl_add_u64 v[8:9], v[10:11], 0, v[8:9]
	v_add_co_u32_e32 v8, vcc, v8, v15
	v_mul_hi_u32 v13, v5, v12
	s_nop 0
	v_addc_co_u32_e32 v8, vcc, v9, v14, vcc
	v_mul_lo_u32 v10, v5, v12
	s_nop 0
	v_addc_co_u32_e32 v11, vcc, 0, v13, vcc
	v_mov_b32_e32 v9, v4
	v_lshl_add_u64 v[8:9], v[8:9], 0, v[10:11]
	v_add_co_u32_e32 v1, vcc, v1, v8
	v_mul_hi_u32 v10, v6, v1
	s_nop 0
	v_addc_co_u32_e32 v5, vcc, v5, v9, vcc
	v_mad_u64_u32 v[8:9], s[2:3], v6, v5, 0
	v_mov_b32_e32 v11, v4
	v_lshl_add_u64 v[8:9], v[10:11], 0, v[8:9]
	v_mad_u64_u32 v[12:13], s[2:3], v7, v1, 0
	v_add_co_u32_e32 v1, vcc, v8, v12
	v_mad_u64_u32 v[10:11], s[2:3], v7, v5, 0
	s_nop 0
	v_addc_co_u32_e32 v8, vcc, v9, v13, vcc
	v_mov_b32_e32 v9, v4
	s_nop 0
	v_addc_co_u32_e32 v11, vcc, 0, v11, vcc
	v_lshl_add_u64 v[8:9], v[8:9], 0, v[10:11]
	v_mul_lo_u32 v1, s21, v8
	v_mul_lo_u32 v5, s20, v9
	v_mad_u64_u32 v[10:11], s[2:3], s20, v8, 0
	v_add3_u32 v1, v11, v5, v1
	v_sub_u32_e32 v5, v7, v1
	v_mov_b32_e32 v11, s21
	v_sub_co_u32_e32 v14, vcc, v6, v10
	v_lshl_add_u64 v[12:13], v[8:9], 0, 1
	s_nop 0
	v_subb_co_u32_e64 v5, s[2:3], v5, v11, vcc
	v_subrev_co_u32_e64 v10, s[2:3], s20, v14
	v_subb_co_u32_e32 v1, vcc, v7, v1, vcc
	s_nop 0
	v_subbrev_co_u32_e64 v5, s[2:3], 0, v5, s[2:3]
	v_cmp_le_u32_e64 s[2:3], s21, v5
	v_cmp_le_u32_e32 vcc, s21, v1
	s_nop 0
	v_cndmask_b32_e64 v11, 0, -1, s[2:3]
	v_cmp_le_u32_e64 s[2:3], s20, v10
	s_nop 1
	v_cndmask_b32_e64 v10, 0, -1, s[2:3]
	v_cmp_eq_u32_e64 s[2:3], s21, v5
	s_nop 1
	v_cndmask_b32_e64 v5, v11, v10, s[2:3]
	v_lshl_add_u64 v[10:11], v[8:9], 0, 2
	v_cmp_ne_u32_e64 s[2:3], 0, v5
	s_nop 1
	v_cndmask_b32_e64 v5, v13, v11, s[2:3]
	v_cndmask_b32_e64 v11, 0, -1, vcc
	v_cmp_le_u32_e32 vcc, s20, v14
	s_nop 1
	v_cndmask_b32_e64 v13, 0, -1, vcc
	v_cmp_eq_u32_e32 vcc, s21, v1
	s_nop 1
	v_cndmask_b32_e32 v1, v11, v13, vcc
	v_cmp_ne_u32_e32 vcc, 0, v1
	v_cndmask_b32_e64 v1, v12, v10, s[2:3]
	s_nop 0
	v_cndmask_b32_e32 v9, v9, v5, vcc
	v_cndmask_b32_e32 v8, v8, v1, vcc
.LBB0_4:                                ;   in Loop: Header=BB0_2 Depth=1
	s_andn2_saveexec_b64 s[2:3], s[22:23]
	s_cbranch_execz .LBB0_6
; %bb.5:                                ;   in Loop: Header=BB0_2 Depth=1
	v_cvt_f32_u32_e32 v1, s20
	s_sub_i32 s22, 0, s20
	v_rcp_iflag_f32_e32 v1, v1
	s_nop 0
	v_mul_f32_e32 v1, 0x4f7ffffe, v1
	v_cvt_u32_f32_e32 v1, v1
	v_mul_lo_u32 v5, s22, v1
	v_mul_hi_u32 v5, v1, v5
	v_add_u32_e32 v1, v1, v5
	v_mul_hi_u32 v1, v6, v1
	v_mul_lo_u32 v5, v1, s20
	v_sub_u32_e32 v5, v6, v5
	v_add_u32_e32 v8, 1, v1
	v_subrev_u32_e32 v9, s20, v5
	v_cmp_le_u32_e32 vcc, s20, v5
	s_nop 1
	v_cndmask_b32_e32 v5, v5, v9, vcc
	v_cndmask_b32_e32 v1, v1, v8, vcc
	v_add_u32_e32 v8, 1, v1
	v_cmp_le_u32_e32 vcc, s20, v5
	v_mov_b32_e32 v9, v4
	s_nop 0
	v_cndmask_b32_e32 v8, v1, v8, vcc
.LBB0_6:                                ;   in Loop: Header=BB0_2 Depth=1
	s_or_b64 exec, exec, s[2:3]
	v_mad_u64_u32 v[10:11], s[2:3], v8, s20, 0
	s_load_dwordx2 s[2:3], s[14:15], 0x0
	v_mul_lo_u32 v1, v9, s20
	v_mul_lo_u32 v5, v8, s21
	v_add3_u32 v1, v11, v5, v1
	v_sub_co_u32_e32 v5, vcc, v6, v10
	s_add_u32 s16, s16, 1
	s_nop 0
	v_subb_co_u32_e32 v1, vcc, v7, v1, vcc
	s_addc_u32 s17, s17, 0
	s_waitcnt lgkmcnt(0)
	v_mul_lo_u32 v1, s2, v1
	v_mul_lo_u32 v6, s3, v5
	v_mad_u64_u32 v[2:3], s[2:3], s2, v5, v[2:3]
	s_add_u32 s14, s14, 8
	v_add3_u32 v3, v6, v3, v1
	s_addc_u32 s15, s15, 0
	v_mov_b64_e32 v[6:7], s[6:7]
	s_add_u32 s18, s18, 8
	v_cmp_ge_u64_e32 vcc, s[16:17], v[6:7]
	s_addc_u32 s19, s19, 0
	s_cbranch_vccnz .LBB0_9
; %bb.7:                                ;   in Loop: Header=BB0_2 Depth=1
	v_mov_b64_e32 v[6:7], v[8:9]
	s_branch .LBB0_2
.LBB0_8:
	v_mov_b64_e32 v[8:9], v[6:7]
.LBB0_9:
	s_lshl_b64 s[2:3], s[6:7], 3
	s_add_u32 s2, s12, s2
	s_addc_u32 s3, s13, s3
	s_load_dwordx2 s[6:7], s[2:3], 0x0
	s_load_dwordx2 s[12:13], s[0:1], 0x20
	s_mov_b32 s2, 0x1e573ad
                                        ; implicit-def: $vgpr128_vgpr129
                                        ; implicit-def: $vgpr130_vgpr131
                                        ; implicit-def: $vgpr126_vgpr127
                                        ; implicit-def: $vgpr132_vgpr133
                                        ; implicit-def: $vgpr173
	s_waitcnt lgkmcnt(0)
	v_mul_lo_u32 v1, s6, v9
	v_mul_lo_u32 v4, s7, v8
	v_mad_u64_u32 v[2:3], s[0:1], s6, v8, v[2:3]
	v_add3_u32 v3, v4, v3, v1
	v_mul_hi_u32 v1, v0, s2
	v_mul_u32_u24_e32 v1, 0x87, v1
	v_cmp_gt_u64_e32 vcc, s[12:13], v[8:9]
	v_cmp_le_u64_e64 s[0:1], s[12:13], v[8:9]
	v_sub_u32_e32 v172, v0, v1
	s_and_saveexec_b64 s[2:3], s[0:1]
	s_xor_b64 s[0:1], exec, s[2:3]
; %bb.10:
	v_add_u32_e32 v133, 0x87, v172
	v_add_u32_e32 v132, 0x10e, v172
	;; [unrolled: 1-line block ×9, first 2 shown]
; %bb.11:
	s_or_saveexec_b64 s[0:1], s[0:1]
	v_lshl_add_u64 v[124:125], v[2:3], 4, s[10:11]
                                        ; implicit-def: $vgpr22_vgpr23
                                        ; implicit-def: $vgpr38_vgpr39
                                        ; implicit-def: $vgpr18_vgpr19
                                        ; implicit-def: $vgpr34_vgpr35
                                        ; implicit-def: $vgpr14_vgpr15
                                        ; implicit-def: $vgpr30_vgpr31
                                        ; implicit-def: $vgpr10_vgpr11
                                        ; implicit-def: $vgpr26_vgpr27
                                        ; implicit-def: $vgpr6_vgpr7
                                        ; implicit-def: $vgpr2_vgpr3
                                        ; implicit-def: $vgpr78_vgpr79
                                        ; implicit-def: $vgpr106_vgpr107
                                        ; implicit-def: $vgpr74_vgpr75
                                        ; implicit-def: $vgpr102_vgpr103
                                        ; implicit-def: $vgpr82_vgpr83
                                        ; implicit-def: $vgpr110_vgpr111
                                        ; implicit-def: $vgpr70_vgpr71
                                        ; implicit-def: $vgpr94_vgpr95
                                        ; implicit-def: $vgpr46_vgpr47
                                        ; implicit-def: $vgpr42_vgpr43
                                        ; implicit-def: $vgpr60_vgpr61
                                        ; implicit-def: $vgpr114_vgpr115
                                        ; implicit-def: $vgpr50_vgpr51
                                        ; implicit-def: $vgpr98_vgpr99
                                        ; implicit-def: $vgpr90_vgpr91
                                        ; implicit-def: $vgpr122_vgpr123
                                        ; implicit-def: $vgpr86_vgpr87
                                        ; implicit-def: $vgpr118_vgpr119
                                        ; implicit-def: $vgpr56_vgpr57
                                        ; implicit-def: $vgpr64_vgpr65
	s_xor_b64 exec, exec, s[0:1]
	s_cbranch_execz .LBB0_13
; %bb.12:
	v_mad_u64_u32 v[0:1], s[2:3], s8, v172, 0
	v_mov_b32_e32 v2, v1
	v_mad_u64_u32 v[2:3], s[2:3], s9, v172, v[2:3]
	v_add_u32_e32 v127, 0x195, v172
	v_mov_b32_e32 v1, v2
	v_mad_u64_u32 v[2:3], s[2:3], s8, v127, 0
	v_mov_b32_e32 v4, v3
	v_mad_u64_u32 v[4:5], s[2:3], s9, v127, v[4:5]
	v_add_u32_e32 v129, 0x32a, v172
	v_mov_b32_e32 v3, v4
	;; [unrolled: 5-line block ×10, first 2 shown]
	v_mad_u64_u32 v[20:21], s[2:3], s8, v133, 0
	v_mov_b32_e32 v22, v21
	v_add_u32_e32 v126, 0x21c, v172
	v_mad_u64_u32 v[22:23], s[2:3], s9, v133, v[22:23]
	v_mov_b32_e32 v21, v22
	v_mad_u64_u32 v[22:23], s[2:3], s8, v126, 0
	v_mov_b32_e32 v24, v23
	v_mad_u64_u32 v[24:25], s[2:3], s9, v126, v[24:25]
	v_add_u32_e32 v173, 0x3b1, v172
	v_mov_b32_e32 v23, v24
	v_mad_u64_u32 v[24:25], s[2:3], s8, v173, 0
	v_mov_b32_e32 v26, v25
	v_mad_u64_u32 v[26:27], s[2:3], s9, v173, v[26:27]
	v_add_u32_e32 v29, 0x546, v172
	v_mov_b32_e32 v25, v26
	v_mad_u64_u32 v[26:27], s[2:3], s8, v29, 0
	v_mov_b32_e32 v28, v27
	v_mad_u64_u32 v[28:29], s[2:3], s9, v29, v[28:29]
	v_add_u32_e32 v31, 0x6db, v172
	v_mov_b32_e32 v27, v28
	v_mad_u64_u32 v[28:29], s[2:3], s8, v31, 0
	v_mov_b32_e32 v30, v29
	v_mad_u64_u32 v[30:31], s[2:3], s9, v31, v[30:31]
	v_add_u32_e32 v33, 0x870, v172
	v_mov_b32_e32 v29, v30
	v_mad_u64_u32 v[30:31], s[2:3], s8, v33, 0
	v_mov_b32_e32 v32, v31
	v_mad_u64_u32 v[32:33], s[2:3], s9, v33, v[32:33]
	v_add_u32_e32 v35, 0xa05, v172
	v_mov_b32_e32 v31, v32
	v_mad_u64_u32 v[32:33], s[2:3], s8, v35, 0
	v_mov_b32_e32 v34, v33
	v_mad_u64_u32 v[34:35], s[2:3], s9, v35, v[34:35]
	v_add_u32_e32 v37, 0xb9a, v172
	v_mov_b32_e32 v33, v34
	v_mad_u64_u32 v[34:35], s[2:3], s8, v37, 0
	v_mov_b32_e32 v36, v35
	v_mad_u64_u32 v[36:37], s[2:3], s9, v37, v[36:37]
	v_add_u32_e32 v39, 0xd2f, v172
	v_mov_b32_e32 v35, v36
	v_mad_u64_u32 v[36:37], s[2:3], s8, v39, 0
	v_mov_b32_e32 v38, v37
	v_mad_u64_u32 v[38:39], s[2:3], s9, v39, v[38:39]
	v_add_u32_e32 v41, 0xec4, v172
	v_mov_b32_e32 v37, v38
	v_mad_u64_u32 v[38:39], s[2:3], s8, v41, 0
	v_mov_b32_e32 v40, v39
	v_add_u32_e32 v132, 0x10e, v172
	v_mad_u64_u32 v[40:41], s[2:3], s9, v41, v[40:41]
	v_mov_b32_e32 v39, v40
	v_mad_u64_u32 v[40:41], s[2:3], s8, v132, 0
	v_mov_b32_e32 v42, v41
	v_add_u32_e32 v128, 0x2a3, v172
	v_mad_u64_u32 v[42:43], s[2:3], s9, v132, v[42:43]
	;; [unrolled: 5-line block ×3, first 2 shown]
	v_mov_b32_e32 v43, v44
	v_mad_u64_u32 v[44:45], s[2:3], s8, v130, 0
	v_mov_b32_e32 v46, v45
	v_mad_u64_u32 v[46:47], s[2:3], s9, v130, v[46:47]
	v_add_u32_e32 v49, 0x5cd, v172
	v_mov_b32_e32 v45, v46
	v_mad_u64_u32 v[46:47], s[2:3], s8, v49, 0
	v_mov_b32_e32 v48, v47
	v_mad_u64_u32 v[48:49], s[2:3], s9, v49, v[48:49]
	v_add_u32_e32 v51, 0x762, v172
	v_mov_b32_e32 v47, v48
	v_mad_u64_u32 v[48:49], s[2:3], s8, v51, 0
	v_mov_b32_e32 v50, v49
	v_mad_u64_u32 v[50:51], s[2:3], s9, v51, v[50:51]
	v_add_u32_e32 v53, 0x8f7, v172
	v_mov_b32_e32 v49, v50
	v_mad_u64_u32 v[50:51], s[2:3], s8, v53, 0
	v_mov_b32_e32 v52, v51
	v_mad_u64_u32 v[52:53], s[2:3], s9, v53, v[52:53]
	v_add_u32_e32 v55, 0xa8c, v172
	v_mov_b32_e32 v51, v52
	v_mad_u64_u32 v[52:53], s[2:3], s8, v55, 0
	v_mov_b32_e32 v54, v53
	v_mad_u64_u32 v[54:55], s[2:3], s9, v55, v[54:55]
	v_add_u32_e32 v57, 0xc21, v172
	v_mov_b32_e32 v53, v54
	v_mad_u64_u32 v[54:55], s[2:3], s8, v57, 0
	v_mov_b32_e32 v56, v55
	v_mad_u64_u32 v[56:57], s[2:3], s9, v57, v[56:57]
	v_add_u32_e32 v59, 0xdb6, v172
	v_mov_b32_e32 v55, v56
	v_mad_u64_u32 v[56:57], s[2:3], s8, v59, 0
	v_mov_b32_e32 v58, v57
	v_mad_u64_u32 v[58:59], s[2:3], s9, v59, v[58:59]
	v_add_u32_e32 v61, 0xf4b, v172
	v_mov_b32_e32 v57, v58
	v_mad_u64_u32 v[58:59], s[2:3], s8, v61, 0
	v_mov_b32_e32 v60, v59
	v_mad_u64_u32 v[60:61], s[2:3], s9, v61, v[60:61]
	v_mov_b32_e32 v59, v60
	v_lshl_add_u64 v[0:1], v[0:1], 4, v[124:125]
	v_lshl_add_u64 v[2:3], v[2:3], 4, v[124:125]
	;; [unrolled: 1-line block ×30, first 2 shown]
	global_load_dwordx4 v[62:65], v[0:1], off
	global_load_dwordx4 v[54:57], v[2:3], off
	;; [unrolled: 1-line block ×14, first 2 shown]
                                        ; kill: killed $vgpr20_vgpr21
                                        ; kill: killed $vgpr10_vgpr11
                                        ; kill: killed $vgpr24_vgpr25
                                        ; kill: killed $vgpr16_vgpr17
                                        ; kill: killed $vgpr0_vgpr1
                                        ; kill: killed $vgpr8_vgpr9
                                        ; kill: killed $vgpr2_vgpr3
                                        ; kill: killed $vgpr14_vgpr15
                                        ; kill: killed $vgpr4_vgpr5
                                        ; kill: killed $vgpr6_vgpr7
                                        ; kill: killed $vgpr12_vgpr13
                                        ; kill: killed $vgpr26_vgpr27
                                        ; kill: killed $vgpr22_vgpr23
                                        ; kill: killed $vgpr18_vgpr19
	global_load_dwordx4 v[108:111], v[28:29], off
	global_load_dwordx4 v[80:83], v[30:31], off
	global_load_dwordx4 v[100:103], v[32:33], off
	global_load_dwordx4 v[72:75], v[34:35], off
	global_load_dwordx4 v[104:107], v[36:37], off
	global_load_dwordx4 v[76:79], v[38:39], off
	global_load_dwordx4 v[0:3], v[66:67], off
                                        ; kill: killed $vgpr32_vgpr33
                                        ; kill: killed $vgpr38_vgpr39
                                        ; kill: killed $vgpr30_vgpr31
                                        ; kill: killed $vgpr36_vgpr37
                                        ; kill: killed $vgpr28_vgpr29
                                        ; kill: killed $vgpr34_vgpr35
                                        ; kill: killed $vgpr66_vgpr67
	global_load_dwordx4 v[4:7], v[134:135], off
	global_load_dwordx4 v[24:27], v[136:137], off
	;; [unrolled: 1-line block ×3, first 2 shown]
                                        ; kill: killed $vgpr138_vgpr139
                                        ; kill: killed $vgpr136_vgpr137
                                        ; kill: killed $vgpr134_vgpr135
	global_load_dwordx4 v[28:31], v[140:141], off
	global_load_dwordx4 v[12:15], v[142:143], off
                                        ; kill: killed $vgpr140_vgpr141
                                        ; kill: killed $vgpr142_vgpr143
	global_load_dwordx4 v[32:35], v[52:53], off
	global_load_dwordx4 v[16:19], v[144:145], off
	;; [unrolled: 1-line block ×4, first 2 shown]
.LBB0_13:
	s_or_b64 exec, exec, s[0:1]
	s_waitcnt vmcnt(27)
	v_add_f64 v[52:53], v[116:117], v[62:63]
	s_waitcnt vmcnt(25)
	v_add_f64 v[52:53], v[120:121], v[52:53]
	;; [unrolled: 2-line block ×4, first 2 shown]
	v_add_f64 v[52:53], v[96:97], v[120:121]
	s_mov_b32 s0, 0x134454ff
	v_fma_f64 v[134:135], -0.5, v[52:53], v[62:63]
	v_add_f64 v[52:53], v[118:119], -v[114:115]
	s_mov_b32 s1, 0x3fee6f0e
	s_mov_b32 s2, 0x4755a5e
	;; [unrolled: 1-line block ×4, first 2 shown]
	v_fma_f64 v[136:137], s[0:1], v[52:53], v[134:135]
	v_add_f64 v[138:139], v[122:123], -v[98:99]
	s_mov_b32 s3, 0x3fe2cf23
	v_add_f64 v[140:141], v[116:117], -v[120:121]
	v_add_f64 v[142:143], v[112:113], -v[96:97]
	s_mov_b32 s6, 0x372fe950
	v_fmac_f64_e32 v[134:135], s[10:11], v[52:53]
	s_mov_b32 s13, 0xbfe2cf23
	s_mov_b32 s12, s2
	v_fmac_f64_e32 v[136:137], s[2:3], v[138:139]
	v_add_f64 v[140:141], v[142:143], v[140:141]
	s_mov_b32 s7, 0x3fd3c6ef
	v_fmac_f64_e32 v[134:135], s[12:13], v[138:139]
	v_fmac_f64_e32 v[136:137], s[6:7], v[140:141]
	;; [unrolled: 1-line block ×3, first 2 shown]
	v_add_f64 v[140:141], v[112:113], v[116:117]
	v_fmac_f64_e32 v[62:63], -0.5, v[140:141]
	v_fma_f64 v[140:141], s[10:11], v[138:139], v[62:63]
	v_fmac_f64_e32 v[62:63], s[0:1], v[138:139]
	v_fmac_f64_e32 v[140:141], s[2:3], v[52:53]
	;; [unrolled: 1-line block ×3, first 2 shown]
	v_add_f64 v[52:53], v[118:119], v[64:65]
	v_add_f64 v[52:53], v[122:123], v[52:53]
	v_add_f64 v[142:143], v[120:121], -v[116:117]
	v_add_f64 v[144:145], v[96:97], -v[112:113]
	v_add_f64 v[52:53], v[98:99], v[52:53]
	v_add_f64 v[142:143], v[144:145], v[142:143]
	;; [unrolled: 1-line block ×4, first 2 shown]
	v_fmac_f64_e32 v[140:141], s[6:7], v[142:143]
	v_fmac_f64_e32 v[62:63], s[6:7], v[142:143]
	v_fma_f64 v[142:143], -0.5, v[52:53], v[64:65]
	v_add_f64 v[52:53], v[116:117], -v[112:113]
	v_fma_f64 v[144:145], s[10:11], v[52:53], v[142:143]
	v_add_f64 v[96:97], v[120:121], -v[96:97]
	v_add_f64 v[112:113], v[118:119], -v[122:123]
	;; [unrolled: 1-line block ×3, first 2 shown]
	v_fmac_f64_e32 v[142:143], s[0:1], v[52:53]
	v_fmac_f64_e32 v[144:145], s[12:13], v[96:97]
	v_add_f64 v[112:113], v[116:117], v[112:113]
	v_fmac_f64_e32 v[142:143], s[2:3], v[96:97]
	v_fmac_f64_e32 v[144:145], s[6:7], v[112:113]
	;; [unrolled: 1-line block ×3, first 2 shown]
	v_add_f64 v[112:113], v[114:115], v[118:119]
	v_fmac_f64_e32 v[64:65], -0.5, v[112:113]
	v_fma_f64 v[120:121], s[0:1], v[96:97], v[64:65]
	v_fmac_f64_e32 v[64:65], s[10:11], v[96:97]
	v_fmac_f64_e32 v[120:121], s[12:13], v[52:53]
	;; [unrolled: 1-line block ×3, first 2 shown]
	v_add_f64 v[52:53], v[84:85], v[54:55]
	v_add_f64 v[112:113], v[122:123], -v[118:119]
	v_add_f64 v[98:99], v[98:99], -v[114:115]
	v_add_f64 v[52:53], v[88:89], v[52:53]
	v_add_f64 v[98:99], v[98:99], v[112:113]
	;; [unrolled: 1-line block ×3, first 2 shown]
	v_fmac_f64_e32 v[120:121], s[6:7], v[98:99]
	v_fmac_f64_e32 v[64:65], s[6:7], v[98:99]
	s_waitcnt vmcnt(20)
	v_add_f64 v[98:99], v[58:59], v[52:53]
	v_add_f64 v[52:53], v[48:49], v[88:89]
	v_fma_f64 v[112:113], -0.5, v[52:53], v[54:55]
	v_add_f64 v[52:53], v[86:87], -v[60:61]
	v_fma_f64 v[114:115], s[0:1], v[52:53], v[112:113]
	v_add_f64 v[96:97], v[90:91], -v[50:51]
	v_add_f64 v[116:117], v[84:85], -v[88:89]
	;; [unrolled: 1-line block ×3, first 2 shown]
	v_fmac_f64_e32 v[112:113], s[10:11], v[52:53]
	v_fmac_f64_e32 v[114:115], s[2:3], v[96:97]
	v_add_f64 v[116:117], v[118:119], v[116:117]
	v_fmac_f64_e32 v[112:113], s[12:13], v[96:97]
	v_fmac_f64_e32 v[114:115], s[6:7], v[116:117]
	;; [unrolled: 1-line block ×3, first 2 shown]
	v_add_f64 v[116:117], v[58:59], v[84:85]
	v_fmac_f64_e32 v[54:55], -0.5, v[116:117]
	v_fma_f64 v[116:117], s[10:11], v[96:97], v[54:55]
	v_fmac_f64_e32 v[54:55], s[0:1], v[96:97]
	v_fmac_f64_e32 v[116:117], s[2:3], v[52:53]
	v_fmac_f64_e32 v[54:55], s[12:13], v[52:53]
	v_add_f64 v[52:53], v[86:87], v[56:57]
	v_add_f64 v[52:53], v[90:91], v[52:53]
	v_add_f64 v[118:119], v[88:89], -v[84:85]
	v_add_f64 v[122:123], v[48:49], -v[58:59]
	v_add_f64 v[52:53], v[50:51], v[52:53]
	v_add_f64 v[118:119], v[122:123], v[118:119]
	;; [unrolled: 1-line block ×4, first 2 shown]
	v_fmac_f64_e32 v[116:117], s[6:7], v[118:119]
	v_fmac_f64_e32 v[54:55], s[6:7], v[118:119]
	v_fma_f64 v[118:119], -0.5, v[52:53], v[56:57]
	v_add_f64 v[52:53], v[84:85], -v[58:59]
	v_fma_f64 v[58:59], s[10:11], v[52:53], v[118:119]
	v_add_f64 v[48:49], v[88:89], -v[48:49]
	v_add_f64 v[84:85], v[86:87], -v[90:91]
	;; [unrolled: 1-line block ×3, first 2 shown]
	v_fmac_f64_e32 v[118:119], s[0:1], v[52:53]
	v_fmac_f64_e32 v[58:59], s[12:13], v[48:49]
	v_add_f64 v[84:85], v[88:89], v[84:85]
	v_fmac_f64_e32 v[118:119], s[2:3], v[48:49]
	v_fmac_f64_e32 v[58:59], s[6:7], v[84:85]
	;; [unrolled: 1-line block ×3, first 2 shown]
	v_add_f64 v[84:85], v[60:61], v[86:87]
	v_fmac_f64_e32 v[56:57], -0.5, v[84:85]
	v_fma_f64 v[146:147], s[0:1], v[48:49], v[56:57]
	v_add_f64 v[84:85], v[90:91], -v[86:87]
	v_add_f64 v[50:51], v[50:51], -v[60:61]
	v_fmac_f64_e32 v[56:57], s[10:11], v[48:49]
	v_add_f64 v[50:51], v[50:51], v[84:85]
	v_fmac_f64_e32 v[56:57], s[2:3], v[52:53]
	s_mov_b32 s14, 0x9b97f4a8
	v_fmac_f64_e32 v[146:147], s[12:13], v[52:53]
	v_fmac_f64_e32 v[56:57], s[6:7], v[50:51]
	s_mov_b32 s15, 0x3fe9e377
	v_mul_f64 v[48:49], v[54:55], s[6:7]
	v_fmac_f64_e32 v[146:147], s[6:7], v[50:51]
	v_mul_f64 v[60:61], v[114:115], s[14:15]
	v_mul_f64 v[148:149], v[116:117], s[6:7]
	v_fma_f64 v[150:151], v[56:57], s[0:1], -v[48:49]
	v_mul_f64 v[48:49], v[112:113], s[14:15]
	v_mul_f64 v[154:155], v[114:115], s[12:13]
	;; [unrolled: 1-line block ×4, first 2 shown]
	v_fmac_f64_e32 v[60:61], s[2:3], v[58:59]
	v_fmac_f64_e32 v[148:149], s[0:1], v[146:147]
	v_fma_f64 v[152:153], v[118:119], s[2:3], -v[48:49]
	v_add_f64 v[48:49], v[122:123], v[138:139]
	v_fmac_f64_e32 v[154:155], s[14:15], v[58:59]
	v_fmac_f64_e32 v[156:157], s[6:7], v[146:147]
	v_fma_f64 v[146:147], v[54:55], s[10:11], -v[56:57]
	v_mul_f64 v[56:57], v[118:119], s[14:15]
	v_add_f64 v[58:59], v[138:139], -v[122:123]
	s_waitcnt vmcnt(13)
	v_add_f64 v[122:123], v[100:101], v[108:109]
	v_add_f64 v[96:97], v[134:135], v[152:153]
	v_fma_f64 v[158:159], v[112:113], s[12:13], -v[56:57]
	v_add_f64 v[118:119], v[134:135], -v[152:153]
	v_fma_f64 v[122:123], -0.5, v[122:123], v[40:41]
	s_waitcnt vmcnt(11)
	v_add_f64 v[134:135], v[94:95], -v[106:107]
	v_add_f64 v[84:85], v[98:99], v[66:67]
	v_add_f64 v[86:87], v[136:137], v[60:61]
	;; [unrolled: 1-line block ×4, first 2 shown]
	v_add_f64 v[98:99], v[66:67], -v[98:99]
	v_add_f64 v[112:113], v[136:137], -v[60:61]
	;; [unrolled: 1-line block ×4, first 2 shown]
	v_fma_f64 v[136:137], s[0:1], v[134:135], v[122:123]
	v_add_f64 v[138:139], v[110:111], -v[102:103]
	v_add_f64 v[140:141], v[92:93], -v[108:109]
	;; [unrolled: 1-line block ×3, first 2 shown]
	v_fmac_f64_e32 v[122:123], s[10:11], v[134:135]
	v_fmac_f64_e32 v[136:137], s[2:3], v[138:139]
	v_add_f64 v[140:141], v[142:143], v[140:141]
	v_fmac_f64_e32 v[122:123], s[12:13], v[138:139]
	v_fmac_f64_e32 v[136:137], s[6:7], v[140:141]
	;; [unrolled: 1-line block ×3, first 2 shown]
	v_add_f64 v[140:141], v[104:105], v[92:93]
	v_add_f64 v[90:91], v[62:63], v[150:151]
	;; [unrolled: 1-line block ×3, first 2 shown]
	v_add_f64 v[116:117], v[62:63], -v[150:151]
	v_add_f64 v[62:63], v[120:121], -v[156:157]
	v_add_f64 v[120:121], v[92:93], v[40:41]
	v_fmac_f64_e32 v[40:41], -0.5, v[140:141]
	v_add_f64 v[50:51], v[144:145], v[154:155]
	v_add_f64 v[60:61], v[144:145], -v[154:155]
	v_add_f64 v[120:121], v[108:109], v[120:121]
	v_fma_f64 v[140:141], s[10:11], v[138:139], v[40:41]
	v_add_f64 v[142:143], v[108:109], -v[92:93]
	v_add_f64 v[144:145], v[100:101], -v[104:105]
	v_fmac_f64_e32 v[40:41], s[0:1], v[138:139]
	v_add_f64 v[138:139], v[102:103], v[110:111]
	v_add_f64 v[120:121], v[100:101], v[120:121]
	v_fmac_f64_e32 v[140:141], s[2:3], v[134:135]
	v_add_f64 v[142:143], v[144:145], v[142:143]
	v_fmac_f64_e32 v[40:41], s[12:13], v[134:135]
	v_fma_f64 v[138:139], -0.5, v[138:139], v[42:43]
	v_add_f64 v[92:93], v[92:93], -v[104:105]
	v_add_f64 v[120:121], v[104:105], v[120:121]
	v_fmac_f64_e32 v[140:141], s[6:7], v[142:143]
	v_fmac_f64_e32 v[40:41], s[6:7], v[142:143]
	v_fma_f64 v[142:143], s[10:11], v[92:93], v[138:139]
	v_add_f64 v[100:101], v[108:109], -v[100:101]
	v_add_f64 v[104:105], v[94:95], -v[110:111]
	;; [unrolled: 1-line block ×3, first 2 shown]
	v_fmac_f64_e32 v[138:139], s[0:1], v[92:93]
	v_fmac_f64_e32 v[142:143], s[12:13], v[100:101]
	v_add_f64 v[104:105], v[108:109], v[104:105]
	v_fmac_f64_e32 v[138:139], s[2:3], v[100:101]
	v_fmac_f64_e32 v[142:143], s[6:7], v[104:105]
	;; [unrolled: 1-line block ×3, first 2 shown]
	v_add_f64 v[104:105], v[106:107], v[94:95]
	v_add_f64 v[134:135], v[94:95], v[42:43]
	v_fmac_f64_e32 v[42:43], -0.5, v[104:105]
	v_fma_f64 v[144:145], s[0:1], v[100:101], v[42:43]
	v_fmac_f64_e32 v[42:43], s[10:11], v[100:101]
	v_fmac_f64_e32 v[144:145], s[12:13], v[92:93]
	v_fmac_f64_e32 v[42:43], s[2:3], v[92:93]
	v_add_f64 v[92:93], v[68:69], v[44:45]
	v_add_f64 v[134:135], v[110:111], v[134:135]
	;; [unrolled: 1-line block ×6, first 2 shown]
	v_add_f64 v[94:95], v[110:111], -v[94:95]
	v_add_f64 v[102:103], v[102:103], -v[106:107]
	s_waitcnt vmcnt(10)
	v_add_f64 v[106:107], v[76:77], v[92:93]
	v_add_f64 v[92:93], v[72:73], v[80:81]
	;; [unrolled: 1-line block ×3, first 2 shown]
	v_fma_f64 v[108:109], -0.5, v[92:93], v[44:45]
	v_add_f64 v[92:93], v[70:71], -v[78:79]
	v_fmac_f64_e32 v[144:145], s[6:7], v[94:95]
	v_fmac_f64_e32 v[42:43], s[6:7], v[94:95]
	v_fma_f64 v[110:111], s[0:1], v[92:93], v[108:109]
	v_add_f64 v[94:95], v[82:83], -v[74:75]
	v_add_f64 v[100:101], v[68:69], -v[80:81]
	;; [unrolled: 1-line block ×3, first 2 shown]
	v_fmac_f64_e32 v[108:109], s[10:11], v[92:93]
	v_fmac_f64_e32 v[110:111], s[2:3], v[94:95]
	v_add_f64 v[100:101], v[102:103], v[100:101]
	v_fmac_f64_e32 v[108:109], s[12:13], v[94:95]
	v_fmac_f64_e32 v[110:111], s[6:7], v[100:101]
	;; [unrolled: 1-line block ×3, first 2 shown]
	v_add_f64 v[100:101], v[76:77], v[68:69]
	v_fmac_f64_e32 v[44:45], -0.5, v[100:101]
	v_add_f64 v[54:55], v[64:65], v[146:147]
	v_add_f64 v[64:65], v[64:65], -v[146:147]
	v_fma_f64 v[146:147], s[10:11], v[94:95], v[44:45]
	v_fmac_f64_e32 v[44:45], s[0:1], v[94:95]
	v_fmac_f64_e32 v[146:147], s[2:3], v[92:93]
	;; [unrolled: 1-line block ×3, first 2 shown]
	v_add_f64 v[92:93], v[70:71], v[46:47]
	v_add_f64 v[92:93], v[82:83], v[92:93]
	;; [unrolled: 1-line block ×5, first 2 shown]
	v_add_f64 v[100:101], v[80:81], -v[68:69]
	v_fma_f64 v[150:151], -0.5, v[92:93], v[46:47]
	v_add_f64 v[68:69], v[68:69], -v[76:77]
	v_add_f64 v[102:103], v[72:73], -v[76:77]
	v_fma_f64 v[76:77], s[10:11], v[68:69], v[150:151]
	v_add_f64 v[72:73], v[80:81], -v[72:73]
	v_add_f64 v[80:81], v[70:71], -v[82:83]
	;; [unrolled: 1-line block ×3, first 2 shown]
	v_fmac_f64_e32 v[150:151], s[0:1], v[68:69]
	v_fmac_f64_e32 v[76:77], s[12:13], v[72:73]
	v_add_f64 v[80:81], v[92:93], v[80:81]
	v_fmac_f64_e32 v[150:151], s[2:3], v[72:73]
	v_fmac_f64_e32 v[76:77], s[6:7], v[80:81]
	;; [unrolled: 1-line block ×3, first 2 shown]
	v_add_f64 v[80:81], v[78:79], v[70:71]
	v_fmac_f64_e32 v[46:47], -0.5, v[80:81]
	v_add_f64 v[100:101], v[102:103], v[100:101]
	v_fma_f64 v[80:81], s[0:1], v[72:73], v[46:47]
	v_add_f64 v[70:71], v[82:83], -v[70:71]
	v_add_f64 v[74:75], v[74:75], -v[78:79]
	v_fmac_f64_e32 v[46:47], s[10:11], v[72:73]
	v_fmac_f64_e32 v[44:45], s[6:7], v[100:101]
	v_add_f64 v[70:71], v[74:75], v[70:71]
	v_fmac_f64_e32 v[46:47], s[2:3], v[68:69]
	v_fmac_f64_e32 v[146:147], s[6:7], v[100:101]
	;; [unrolled: 1-line block ×4, first 2 shown]
	v_mul_f64 v[68:69], v[44:45], s[6:7]
	v_fmac_f64_e32 v[80:81], s[6:7], v[70:71]
	v_mul_f64 v[82:83], v[146:147], s[6:7]
	v_fma_f64 v[152:153], v[46:47], s[0:1], -v[68:69]
	v_mul_f64 v[146:147], v[146:147], s[10:11]
	v_mul_f64 v[46:47], v[46:47], s[6:7]
	v_fmac_f64_e32 v[82:83], s[0:1], v[80:81]
	v_fmac_f64_e32 v[146:147], s[6:7], v[80:81]
	v_fma_f64 v[80:81], v[44:45], s[10:11], -v[46:47]
	v_mul_f64 v[78:79], v[110:111], s[14:15]
	v_mul_f64 v[68:69], v[108:109], s[14:15]
	v_mul_f64 v[156:157], v[110:111], s[12:13]
	v_add_f64 v[74:75], v[42:43], v[80:81]
	v_mul_f64 v[44:45], v[150:151], s[14:15]
	v_add_f64 v[80:81], v[42:43], -v[80:81]
	s_waitcnt vmcnt(3)
	v_add_f64 v[42:43], v[32:33], v[28:29]
	v_fmac_f64_e32 v[78:79], s[2:3], v[76:77]
	v_fma_f64 v[154:155], v[150:151], s[2:3], -v[68:69]
	v_add_f64 v[68:69], v[148:149], v[134:135]
	v_fmac_f64_e32 v[156:157], s[14:15], v[76:77]
	v_fma_f64 v[150:151], v[108:109], s[12:13], -v[44:45]
	v_add_f64 v[46:47], v[134:135], -v[148:149]
	v_fma_f64 v[42:43], -0.5, v[42:43], v[0:1]
	s_waitcnt vmcnt(1)
	v_add_f64 v[134:135], v[26:27], -v[38:39]
	v_add_f64 v[94:95], v[136:137], v[78:79]
	v_add_f64 v[100:101], v[140:141], v[82:83]
	;; [unrolled: 1-line block ×4, first 2 shown]
	v_add_f64 v[108:109], v[136:137], -v[78:79]
	v_add_f64 v[110:111], v[140:141], -v[82:83]
	;; [unrolled: 1-line block ×4, first 2 shown]
	v_fma_f64 v[138:139], s[0:1], v[134:135], v[42:43]
	v_add_f64 v[136:137], v[30:31], -v[34:35]
	v_add_f64 v[140:141], v[24:25], -v[28:29]
	;; [unrolled: 1-line block ×3, first 2 shown]
	v_fmac_f64_e32 v[42:43], s[10:11], v[134:135]
	v_fmac_f64_e32 v[138:139], s[2:3], v[136:137]
	v_add_f64 v[140:141], v[142:143], v[140:141]
	v_fmac_f64_e32 v[42:43], s[12:13], v[136:137]
	v_fmac_f64_e32 v[138:139], s[6:7], v[140:141]
	;; [unrolled: 1-line block ×3, first 2 shown]
	v_add_f64 v[140:141], v[36:37], v[24:25]
	v_add_f64 v[92:93], v[106:107], v[120:121]
	;; [unrolled: 1-line block ×3, first 2 shown]
	v_add_f64 v[106:107], v[120:121], -v[106:107]
	v_add_f64 v[120:121], v[40:41], -v[152:153]
	v_add_f64 v[40:41], v[24:25], v[0:1]
	v_fmac_f64_e32 v[0:1], -0.5, v[140:141]
	v_add_f64 v[72:73], v[144:145], v[146:147]
	v_add_f64 v[78:79], v[144:145], -v[146:147]
	v_fma_f64 v[146:147], s[10:11], v[136:137], v[0:1]
	v_fmac_f64_e32 v[0:1], s[0:1], v[136:137]
	v_fmac_f64_e32 v[146:147], s[2:3], v[134:135]
	;; [unrolled: 1-line block ×3, first 2 shown]
	v_add_f64 v[134:135], v[26:27], v[2:3]
	v_add_f64 v[134:135], v[30:31], v[134:135]
	;; [unrolled: 1-line block ×7, first 2 shown]
	v_add_f64 v[122:123], v[122:123], -v[154:155]
	v_add_f64 v[40:41], v[32:33], v[40:41]
	v_add_f64 v[140:141], v[28:29], -v[24:25]
	v_fma_f64 v[154:155], -0.5, v[134:135], v[2:3]
	v_add_f64 v[24:25], v[24:25], -v[36:37]
	v_add_f64 v[40:41], v[36:37], v[40:41]
	v_add_f64 v[142:143], v[32:33], -v[36:37]
	v_fma_f64 v[36:37], s[10:11], v[24:25], v[154:155]
	v_add_f64 v[28:29], v[28:29], -v[32:33]
	v_add_f64 v[32:33], v[26:27], -v[30:31]
	;; [unrolled: 1-line block ×3, first 2 shown]
	v_fmac_f64_e32 v[154:155], s[0:1], v[24:25]
	v_fmac_f64_e32 v[36:37], s[12:13], v[28:29]
	v_add_f64 v[32:33], v[134:135], v[32:33]
	v_fmac_f64_e32 v[154:155], s[2:3], v[28:29]
	v_fmac_f64_e32 v[36:37], s[6:7], v[32:33]
	;; [unrolled: 1-line block ×3, first 2 shown]
	v_add_f64 v[32:33], v[38:39], v[26:27]
	v_fmac_f64_e32 v[2:3], -0.5, v[32:33]
	v_fma_f64 v[32:33], s[0:1], v[28:29], v[2:3]
	v_add_f64 v[26:27], v[30:31], -v[26:27]
	v_add_f64 v[30:31], v[34:35], -v[38:39]
	v_fmac_f64_e32 v[2:3], s[10:11], v[28:29]
	v_fmac_f64_e32 v[32:33], s[12:13], v[24:25]
	v_add_f64 v[26:27], v[30:31], v[26:27]
	v_fmac_f64_e32 v[2:3], s[2:3], v[24:25]
	v_fmac_f64_e32 v[32:33], s[6:7], v[26:27]
	;; [unrolled: 1-line block ×3, first 2 shown]
	v_add_f64 v[26:27], v[16:17], v[12:13]
	v_fma_f64 v[26:27], -0.5, v[26:27], v[4:5]
	s_waitcnt vmcnt(0)
	v_add_f64 v[28:29], v[10:11], -v[22:23]
	v_fma_f64 v[30:31], s[0:1], v[28:29], v[26:27]
	v_add_f64 v[34:35], v[14:15], -v[18:19]
	v_add_f64 v[38:39], v[8:9], -v[12:13]
	;; [unrolled: 1-line block ×3, first 2 shown]
	v_fmac_f64_e32 v[26:27], s[10:11], v[28:29]
	v_fmac_f64_e32 v[30:31], s[2:3], v[34:35]
	v_add_f64 v[38:39], v[134:135], v[38:39]
	v_fmac_f64_e32 v[26:27], s[12:13], v[34:35]
	v_fmac_f64_e32 v[30:31], s[6:7], v[38:39]
	;; [unrolled: 1-line block ×3, first 2 shown]
	v_add_f64 v[38:39], v[20:21], v[8:9]
	v_add_f64 v[24:25], v[8:9], v[4:5]
	v_fmac_f64_e32 v[4:5], -0.5, v[38:39]
	v_add_f64 v[24:25], v[12:13], v[24:25]
	v_fma_f64 v[38:39], s[10:11], v[34:35], v[4:5]
	v_add_f64 v[134:135], v[12:13], -v[8:9]
	v_add_f64 v[136:137], v[16:17], -v[20:21]
	v_fmac_f64_e32 v[4:5], s[0:1], v[34:35]
	v_add_f64 v[34:35], v[18:19], v[14:15]
	v_add_f64 v[24:25], v[16:17], v[24:25]
	v_fmac_f64_e32 v[38:39], s[2:3], v[28:29]
	v_add_f64 v[134:135], v[136:137], v[134:135]
	v_fmac_f64_e32 v[4:5], s[12:13], v[28:29]
	v_fma_f64 v[34:35], -0.5, v[34:35], v[6:7]
	v_add_f64 v[8:9], v[8:9], -v[20:21]
	v_add_f64 v[24:25], v[20:21], v[24:25]
	v_fmac_f64_e32 v[38:39], s[6:7], v[134:135]
	v_fmac_f64_e32 v[4:5], s[6:7], v[134:135]
	v_fma_f64 v[20:21], s[10:11], v[8:9], v[34:35]
	v_add_f64 v[12:13], v[12:13], -v[16:17]
	v_add_f64 v[16:17], v[10:11], -v[14:15]
	;; [unrolled: 1-line block ×3, first 2 shown]
	v_fmac_f64_e32 v[34:35], s[0:1], v[8:9]
	v_fmac_f64_e32 v[20:21], s[12:13], v[12:13]
	v_add_f64 v[16:17], v[134:135], v[16:17]
	v_fmac_f64_e32 v[34:35], s[2:3], v[12:13]
	v_fmac_f64_e32 v[20:21], s[6:7], v[16:17]
	;; [unrolled: 1-line block ×3, first 2 shown]
	v_add_f64 v[16:17], v[22:23], v[10:11]
	v_add_f64 v[140:141], v[142:143], v[140:141]
	;; [unrolled: 1-line block ×3, first 2 shown]
	v_fmac_f64_e32 v[6:7], -0.5, v[16:17]
	v_fmac_f64_e32 v[146:147], s[6:7], v[140:141]
	v_fmac_f64_e32 v[0:1], s[6:7], v[140:141]
	v_add_f64 v[28:29], v[14:15], v[28:29]
	v_fma_f64 v[140:141], s[0:1], v[12:13], v[6:7]
	v_add_f64 v[10:11], v[14:15], -v[10:11]
	v_add_f64 v[14:15], v[18:19], -v[22:23]
	v_fmac_f64_e32 v[6:7], s[10:11], v[12:13]
	v_add_f64 v[10:11], v[14:15], v[10:11]
	v_fmac_f64_e32 v[6:7], s[2:3], v[8:9]
	v_add_f64 v[28:29], v[18:19], v[28:29]
	v_fmac_f64_e32 v[6:7], s[6:7], v[10:11]
	v_mul_f64 v[14:15], v[4:5], s[6:7]
	v_add_f64 v[28:29], v[22:23], v[28:29]
	v_mul_f64 v[22:23], v[30:31], s[14:15]
	v_fma_f64 v[152:153], v[6:7], s[0:1], -v[14:15]
	v_mul_f64 v[30:31], v[30:31], s[12:13]
	v_mul_f64 v[6:7], v[6:7], s[6:7]
	v_fmac_f64_e32 v[140:141], s[12:13], v[8:9]
	v_fmac_f64_e32 v[22:23], s[2:3], v[20:21]
	v_add_f64 v[14:15], v[0:1], v[152:153]
	v_fmac_f64_e32 v[30:31], s[14:15], v[20:21]
	v_fma_f64 v[158:159], v[4:5], s[10:11], -v[6:7]
	v_mul_f64 v[4:5], v[34:35], s[14:15]
	v_add_f64 v[20:21], v[0:1], -v[152:153]
	v_mul_u32_u24_e32 v0, 10, v172
	v_fmac_f64_e32 v[140:141], s[6:7], v[10:11]
	v_add_f64 v[10:11], v[138:139], v[22:23]
	v_mul_f64 v[16:17], v[26:27], s[14:15]
	v_fma_f64 v[26:27], v[26:27], s[12:13], -v[4:5]
	v_add_f64 v[4:5], v[138:139], -v[22:23]
	v_lshl_add_u32 v139, v0, 3, 0
	v_mul_i32_i24_e32 v0, 10, v133
	v_mul_f64 v[150:151], v[38:39], s[6:7]
	v_lshl_add_u32 v174, v0, 3, 0
	v_mul_i32_i24_e32 v0, 10, v132
	s_movk_i32 s14, 0xffb8
	v_fmac_f64_e32 v[150:151], s[0:1], v[140:141]
	v_fma_f64 v[156:157], v[34:35], s[2:3], -v[16:17]
	v_mul_f64 v[38:39], v[38:39], s[10:11]
	v_lshl_add_u32 v175, v0, 3, 0
	v_mad_i32_i24 v176, v172, s14, v139
	v_add_f64 v[8:9], v[24:25], v[40:41]
	v_add_f64 v[12:13], v[146:147], v[150:151]
	;; [unrolled: 1-line block ×3, first 2 shown]
	v_fmac_f64_e32 v[38:39], s[6:7], v[140:141]
	v_add_f64 v[18:19], v[40:41], -v[24:25]
	v_add_f64 v[6:7], v[146:147], -v[150:151]
	;; [unrolled: 1-line block ×3, first 2 shown]
	ds_write_b128 v139, v[84:87]
	ds_write_b128 v139, v[88:91] offset:16
	ds_write_b128 v139, v[96:99] offset:32
	;; [unrolled: 1-line block ×4, first 2 shown]
	ds_write_b128 v174, v[92:95]
	ds_write_b128 v174, v[100:103] offset:16
	ds_write_b128 v174, v[104:107] offset:32
	;; [unrolled: 1-line block ×4, first 2 shown]
	v_add_u32_e32 v117, 0x2c00, v176
	v_add_u32_e32 v116, 0x4400, v176
	;; [unrolled: 1-line block ×3, first 2 shown]
	v_mad_i32_i24 v182, v133, s14, v174
	v_add_u32_e32 v113, 0x1c00, v176
	v_add_u32_e32 v115, 0x3400, v176
	;; [unrolled: 1-line block ×4, first 2 shown]
	v_mad_i32_i24 v181, v132, s14, v175
	v_add_u32_e32 v109, 0x2400, v176
	v_add_u32_e32 v108, 0x3c00, v176
	;; [unrolled: 1-line block ×4, first 2 shown]
	v_lshl_add_u32 v179, v126, 3, 0
	s_mov_b32 s14, 0xcccd
	v_add_f64 v[134:135], v[28:29], v[148:149]
	v_add_f64 v[136:137], v[36:37], v[30:31]
	;; [unrolled: 1-line block ×5, first 2 shown]
	v_add_f64 v[146:147], v[148:149], -v[28:29]
	v_add_f64 v[148:149], v[36:37], -v[30:31]
	;; [unrolled: 1-line block ×5, first 2 shown]
	ds_write_b128 v175, v[8:11]
	ds_write_b128 v175, v[12:15] offset:16
	ds_write_b128 v175, v[16:19] offset:32
	;; [unrolled: 1-line block ×4, first 2 shown]
	s_waitcnt lgkmcnt(0)
	s_barrier
	ds_read_b64 v[102:103], v176
	ds_read_b64 v[94:95], v179
	v_lshl_add_u32 v178, v129, 3, 0
	ds_read2_b64 v[8:11], v117 offset0:77 offset1:212
	ds_read2_b64 v[4:7], v116 offset0:119 offset1:254
	;; [unrolled: 1-line block ×7, first 2 shown]
	v_lshl_add_u32 v177, v127, 3, 0
	ds_read2_b64 v[24:27], v109 offset0:63 offset1:198
	ds_read2_b64 v[20:23], v108 offset0:105 offset1:240
	;; [unrolled: 1-line block ×4, first 2 shown]
	v_lshl_add_u32 v180, v128, 3, 0
	ds_read_b64 v[98:99], v181
	ds_read_b64 v[100:101], v182
	;; [unrolled: 1-line block ×5, first 2 shown]
	ds_read_b64 v[104:105], v176 offset:31320
	s_waitcnt lgkmcnt(0)
	s_barrier
	ds_write_b128 v139, v[48:51]
	ds_write_b128 v139, v[52:55] offset:16
	ds_write_b128 v139, v[56:59] offset:32
	ds_write_b128 v139, v[60:63] offset:48
	ds_write_b128 v139, v[64:67] offset:64
	ds_write_b128 v174, v[68:71]
	ds_write_b128 v174, v[72:75] offset:16
	ds_write_b128 v174, v[44:47] offset:32
	ds_write_b128 v174, v[76:79] offset:48
	ds_write_b128 v174, v[80:83] offset:64
	;; [unrolled: 5-line block ×3, first 2 shown]
	v_mul_u32_u24_sdwa v44, v133, s14 dst_sel:DWORD dst_unused:UNUSED_PAD src0_sel:WORD_0 src1_sel:DWORD
	v_lshrrev_b32_e32 v161, 19, v44
	v_mul_lo_u16_e32 v44, 10, v161
	v_sub_u16_e32 v160, v133, v44
	v_lshlrev_b32_e32 v48, 6, v160
	s_waitcnt lgkmcnt(0)
	s_barrier
	global_load_dwordx4 v[60:63], v48, s[4:5]
	global_load_dwordx4 v[44:47], v48, s[4:5] offset:16
	v_mul_u32_u24_sdwa v49, v132, s14 dst_sel:DWORD dst_unused:UNUSED_PAD src0_sel:WORD_0 src1_sel:DWORD
	v_lshrrev_b32_e32 v165, 19, v49
	v_mul_lo_u16_e32 v49, 10, v165
	v_sub_u16_e32 v162, v132, v49
	v_lshlrev_b32_e32 v49, 6, v162
	global_load_dwordx4 v[76:79], v49, s[4:5]
	global_load_dwordx4 v[72:75], v49, s[4:5] offset:16
	global_load_dwordx4 v[64:67], v48, s[4:5] offset:32
	;; [unrolled: 1-line block ×4, first 2 shown]
                                        ; kill: killed $vgpr48
	s_nop 0
	global_load_dwordx4 v[48:51], v49, s[4:5] offset:48
	v_mul_u32_u24_sdwa v68, v127, s14 dst_sel:DWORD dst_unused:UNUSED_PAD src0_sel:WORD_0 src1_sel:DWORD
	v_lshrrev_b32_e32 v164, 19, v68
	v_mul_lo_u16_e32 v68, 10, v164
	v_sub_u16_e32 v163, v127, v68
	v_lshlrev_b32_e32 v122, 6, v163
	v_mul_u32_u24_sdwa v84, v126, s14 dst_sel:DWORD dst_unused:UNUSED_PAD src0_sel:WORD_0 src1_sel:DWORD
	global_load_dwordx4 v[68:71], v122, s[4:5] offset:16
	global_load_dwordx4 v[80:83], v122, s[4:5]
	v_lshrrev_b32_e32 v167, 19, v84
	v_mul_lo_u16_e32 v84, 10, v167
	v_sub_u16_e32 v166, v126, v84
	v_lshlrev_b32_e32 v123, 6, v166
	global_load_dwordx4 v[88:91], v123, s[4:5]
	global_load_dwordx4 v[84:87], v123, s[4:5] offset:16
	global_load_dwordx4 v[118:121], v122, s[4:5] offset:32
	ds_read2_b64 v[134:137], v113 offset0:49 offset1:184
	global_load_dwordx4 v[144:147], v122, s[4:5] offset:48
	global_load_dwordx4 v[184:187], v123, s[4:5] offset:48
	;; [unrolled: 1-line block ×3, first 2 shown]
	s_movk_i32 s15, 0xcd
	v_mul_lo_u16_sdwa v113, v172, s15 dst_sel:DWORD dst_unused:UNUSED_PAD src0_sel:BYTE_0 src1_sel:DWORD
	v_lshrrev_b16_e32 v170, 11, v113
	v_mul_lo_u16_e32 v113, 10, v170
	v_sub_u16_e32 v171, v172, v113
	v_mov_b32_e32 v113, 6
	v_lshlrev_b32_sdwa v113, v113, v171 dst_sel:DWORD dst_unused:UNUSED_PAD src0_sel:DWORD src1_sel:BYTE_0
	ds_read2_b64 v[154:157], v115 offset0:91 offset1:226
	global_load_dwordx4 v[192:195], v113, s[4:5] offset:16
	v_mul_u32_u24_sdwa v115, v128, s14 dst_sel:DWORD dst_unused:UNUSED_PAD src0_sel:WORD_0 src1_sel:DWORD
	v_lshrrev_b32_e32 v168, 19, v115
	v_mul_lo_u16_e32 v115, 10, v168
	v_sub_u16_e32 v169, v128, v115
	v_lshlrev_b32_e32 v115, 6, v169
	global_load_dwordx4 v[196:199], v115, s[4:5] offset:16
	global_load_dwordx4 v[200:203], v115, s[4:5]
	global_load_dwordx4 v[204:207], v113, s[4:5] offset:32
	global_load_dwordx4 v[208:211], v113, s[4:5] offset:48
	;; [unrolled: 1-line block ×4, first 2 shown]
	v_add_u32_e32 v183, 0x2800, v176
	s_mov_b32 s14, 0x91a3
	s_waitcnt vmcnt(22) lgkmcnt(1)
	v_mul_f64 v[122:123], v[134:135], v[62:63]
	v_fma_f64 v[148:149], v[40:41], v[60:61], -v[122:123]
	v_mul_f64 v[62:63], v[40:41], v[62:63]
	s_waitcnt vmcnt(21) lgkmcnt(0)
	v_mul_f64 v[40:41], v[154:155], v[46:47]
	v_fmac_f64_e32 v[62:63], v[134:135], v[60:61]
	v_fma_f64 v[60:61], v[36:37], v[44:45], -v[40:41]
	v_mul_f64 v[152:153], v[36:37], v[46:47]
	s_waitcnt vmcnt(20)
	v_mul_f64 v[36:37], v[136:137], v[78:79]
	v_fmac_f64_e32 v[152:153], v[154:155], v[44:45]
	v_fma_f64 v[142:143], v[42:43], v[76:77], -v[36:37]
	v_mul_f64 v[36:37], v[42:43], v[78:79]
	s_waitcnt vmcnt(19)
	v_mul_f64 v[44:45], v[156:157], v[74:75]
	v_fmac_f64_e32 v[36:37], v[136:137], v[76:77]
	v_fma_f64 v[76:77], v[38:39], v[72:73], -v[44:45]
	global_load_dwordx4 v[44:47], v113, s[4:5]
	ds_read2_b64 v[40:43], v112 offset0:5 offset1:140
	ds_read2_b64 v[134:137], v111 offset0:47 offset1:182
	v_mul_f64 v[38:39], v[38:39], v[74:75]
	v_fmac_f64_e32 v[38:39], v[156:157], v[72:73]
	s_waitcnt vmcnt(19)
	v_mul_f64 v[156:157], v[32:33], v[66:67]
	s_waitcnt lgkmcnt(1)
	v_mul_f64 v[72:73], v[40:41], v[66:67]
	v_fma_f64 v[158:159], v[32:33], v[64:65], -v[72:73]
	s_waitcnt vmcnt(18)
	v_mul_f64 v[32:33], v[42:43], v[58:59]
	v_fma_f64 v[74:75], v[34:35], v[56:57], -v[32:33]
	v_mul_f64 v[32:33], v[34:35], v[58:59]
	s_waitcnt vmcnt(17) lgkmcnt(0)
	v_mul_f64 v[34:35], v[134:135], v[54:55]
	v_fmac_f64_e32 v[156:157], v[40:41], v[64:65]
	v_fmac_f64_e32 v[32:33], v[42:43], v[56:57]
	ds_read2_b64 v[40:43], v109 offset0:63 offset1:198
	v_fma_f64 v[58:59], v[28:29], v[52:53], -v[34:35]
	v_mul_f64 v[28:29], v[28:29], v[54:55]
	v_fmac_f64_e32 v[28:29], v[134:135], v[52:53]
	s_waitcnt vmcnt(16)
	v_mul_f64 v[34:35], v[136:137], v[50:51]
	v_mul_f64 v[154:155], v[30:31], v[50:51]
	ds_read2_b64 v[50:53], v108 offset0:105 offset1:240
	v_fma_f64 v[66:67], v[30:31], v[48:49], -v[34:35]
	s_waitcnt vmcnt(14) lgkmcnt(1)
	v_mul_f64 v[30:31], v[40:41], v[82:83]
	v_fma_f64 v[78:79], v[24:25], v[80:81], -v[30:31]
	v_mul_f64 v[30:31], v[24:25], v[82:83]
	s_waitcnt lgkmcnt(0)
	v_mul_f64 v[24:25], v[50:51], v[70:71]
	v_fmac_f64_e32 v[30:31], v[40:41], v[80:81]
	v_fma_f64 v[80:81], v[20:21], v[68:69], -v[24:25]
	s_waitcnt vmcnt(13)
	v_mul_f64 v[24:25], v[42:43], v[90:91]
	v_fma_f64 v[112:113], v[26:27], v[88:89], -v[24:25]
	v_mul_f64 v[108:109], v[26:27], v[90:91]
	ds_read2_b64 v[24:27], v110 offset0:19 offset1:154
	v_mul_f64 v[34:35], v[20:21], v[70:71]
	s_waitcnt vmcnt(12)
	v_mul_f64 v[20:21], v[52:53], v[86:87]
	v_fmac_f64_e32 v[108:109], v[42:43], v[88:89]
	v_fma_f64 v[88:89], v[22:23], v[84:85], -v[20:21]
	v_mul_f64 v[110:111], v[22:23], v[86:87]
	ds_read2_b64 v[20:23], v114 offset0:61 offset1:196
	s_waitcnt vmcnt(11) lgkmcnt(1)
	v_mul_f64 v[40:41], v[24:25], v[120:121]
	v_fma_f64 v[86:87], v[16:17], v[118:119], -v[40:41]
	v_mul_f64 v[82:83], v[16:17], v[120:121]
	s_waitcnt vmcnt(8)
	v_mul_f64 v[16:17], v[26:27], v[190:191]
	v_fma_f64 v[90:91], v[18:19], v[188:189], -v[16:17]
	v_mul_f64 v[114:115], v[18:19], v[190:191]
	ds_read2_b64 v[16:19], v117 offset0:77 offset1:212
	v_fmac_f64_e32 v[82:83], v[24:25], v[118:119]
	s_waitcnt lgkmcnt(1)
	v_mul_f64 v[24:25], v[20:21], v[146:147]
	v_fmac_f64_e32 v[110:111], v[52:53], v[84:85]
	v_fma_f64 v[150:151], v[12:13], v[144:145], -v[24:25]
	v_mul_f64 v[84:85], v[12:13], v[146:147]
	v_mul_f64 v[12:13], v[22:23], v[186:187]
	v_fmac_f64_e32 v[154:155], v[136:137], v[48:49]
	v_fma_f64 v[136:137], v[14:15], v[184:185], -v[12:13]
	s_waitcnt vmcnt(7) lgkmcnt(0)
	v_mul_f64 v[12:13], v[18:19], v[194:195]
	v_fmac_f64_e32 v[84:85], v[20:21], v[144:145]
	v_mul_f64 v[118:119], v[14:15], v[186:187]
	v_fma_f64 v[14:15], v[10:11], v[192:193], -v[12:13]
	v_mul_f64 v[20:21], v[10:11], v[194:195]
	ds_read2_b64 v[10:13], v116 offset0:119 offset1:254
	v_fmac_f64_e32 v[20:21], v[18:19], v[192:193]
	s_waitcnt vmcnt(5)
	v_mul_f64 v[18:19], v[16:17], v[202:203]
	v_fma_f64 v[116:117], v[8:9], v[200:201], -v[18:19]
	v_mul_f64 v[120:121], v[8:9], v[202:203]
	s_waitcnt vmcnt(4) lgkmcnt(0)
	v_mul_f64 v[8:9], v[12:13], v[206:207]
	v_fmac_f64_e32 v[120:121], v[16:17], v[200:201]
	v_fma_f64 v[16:17], v[6:7], v[204:205], -v[8:9]
	v_mul_f64 v[18:19], v[6:7], v[206:207]
	v_mul_f64 v[6:7], v[10:11], v[198:199]
	ds_read_b64 v[40:41], v176
	v_fma_f64 v[134:135], v[4:5], v[196:197], -v[6:7]
	v_mul_f64 v[122:123], v[4:5], v[198:199]
	ds_read_b64 v[8:9], v178
	ds_read2_b64 v[4:7], v138 offset0:33 offset1:168
	v_fmac_f64_e32 v[122:123], v[10:11], v[196:197]
	ds_read_b64 v[42:43], v177
	ds_read_b64 v[10:11], v176 offset:31320
	v_fmac_f64_e32 v[118:119], v[22:23], v[184:185]
	v_fmac_f64_e32 v[18:19], v[12:13], v[204:205]
	;; [unrolled: 1-line block ×3, first 2 shown]
	s_waitcnt vmcnt(3)
	v_mul_f64 v[26:27], v[2:3], v[210:211]
	s_waitcnt vmcnt(2)
	v_mul_f64 v[138:139], v[0:1], v[214:215]
	s_waitcnt lgkmcnt(2)
	v_fmac_f64_e32 v[26:27], v[6:7], v[208:209]
	s_waitcnt vmcnt(0)
	v_mul_f64 v[22:23], v[106:107], v[46:47]
	v_mul_f64 v[12:13], v[8:9], v[46:47]
	v_fmac_f64_e32 v[22:23], v[8:9], v[44:45]
	v_mul_f64 v[8:9], v[6:7], v[210:211]
	v_fma_f64 v[24:25], v[2:3], v[208:209], -v[8:9]
	v_mul_f64 v[2:3], v[4:5], v[214:215]
	v_fma_f64 v[12:13], v[106:107], v[44:45], -v[12:13]
	v_fma_f64 v[144:145], v[0:1], v[212:213], -v[2:3]
	s_waitcnt lgkmcnt(0)
	v_mul_f64 v[0:1], v[10:11], v[218:219]
	v_fma_f64 v[146:147], v[104:105], v[216:217], -v[0:1]
	v_add_f64 v[0:1], v[102:103], v[12:13]
	v_add_f64 v[0:1], v[0:1], v[14:15]
	;; [unrolled: 1-line block ×5, first 2 shown]
	v_mul_f64 v[140:141], v[104:105], v[218:219]
	v_fma_f64 v[0:1], -0.5, v[0:1], v[102:103]
	v_add_f64 v[6:7], v[22:23], -v[26:27]
	v_fmac_f64_e32 v[138:139], v[4:5], v[212:213]
	v_fmac_f64_e32 v[140:141], v[10:11], v[216:217]
	v_fma_f64 v[4:5], s[0:1], v[6:7], v[0:1]
	v_add_f64 v[10:11], v[20:21], -v[18:19]
	v_add_f64 v[8:9], v[12:13], -v[14:15]
	;; [unrolled: 1-line block ×3, first 2 shown]
	v_fmac_f64_e32 v[0:1], s[10:11], v[6:7]
	v_fmac_f64_e32 v[4:5], s[2:3], v[10:11]
	v_add_f64 v[8:9], v[8:9], v[44:45]
	v_fmac_f64_e32 v[0:1], s[12:13], v[10:11]
	v_fmac_f64_e32 v[4:5], s[6:7], v[8:9]
	v_fmac_f64_e32 v[0:1], s[6:7], v[8:9]
	v_add_f64 v[8:9], v[12:13], v[24:25]
	v_fmac_f64_e32 v[102:103], -0.5, v[8:9]
	v_add_f64 v[8:9], v[14:15], -v[12:13]
	v_add_f64 v[44:45], v[16:17], -v[24:25]
	v_add_f64 v[44:45], v[8:9], v[44:45]
	v_fma_f64 v[8:9], s[10:11], v[10:11], v[102:103]
	v_fmac_f64_e32 v[102:103], s[0:1], v[10:11]
	v_fmac_f64_e32 v[8:9], s[2:3], v[6:7]
	;; [unrolled: 1-line block ×3, first 2 shown]
	v_add_f64 v[6:7], v[40:41], v[22:23]
	v_add_f64 v[6:7], v[6:7], v[20:21]
	;; [unrolled: 1-line block ×5, first 2 shown]
	v_fmac_f64_e32 v[8:9], s[6:7], v[44:45]
	v_fmac_f64_e32 v[102:103], s[6:7], v[44:45]
	v_fma_f64 v[44:45], -0.5, v[6:7], v[40:41]
	v_add_f64 v[6:7], v[12:13], -v[24:25]
	v_fma_f64 v[72:73], s[10:11], v[6:7], v[44:45]
	v_add_f64 v[10:11], v[14:15], -v[16:17]
	v_add_f64 v[12:13], v[22:23], -v[20:21]
	;; [unrolled: 1-line block ×3, first 2 shown]
	v_fmac_f64_e32 v[44:45], s[0:1], v[6:7]
	v_fmac_f64_e32 v[72:73], s[12:13], v[10:11]
	v_add_f64 v[12:13], v[12:13], v[14:15]
	v_fmac_f64_e32 v[44:45], s[2:3], v[10:11]
	v_fmac_f64_e32 v[72:73], s[6:7], v[12:13]
	;; [unrolled: 1-line block ×3, first 2 shown]
	v_add_f64 v[12:13], v[22:23], v[26:27]
	v_fmac_f64_e32 v[40:41], -0.5, v[12:13]
	v_fma_f64 v[46:47], s[0:1], v[10:11], v[40:41]
	v_fmac_f64_e32 v[40:41], s[10:11], v[10:11]
	v_fmac_f64_e32 v[46:47], s[12:13], v[6:7]
	;; [unrolled: 1-line block ×3, first 2 shown]
	v_add_f64 v[6:7], v[100:101], v[148:149]
	v_add_f64 v[12:13], v[20:21], -v[22:23]
	v_add_f64 v[14:15], v[18:19], -v[26:27]
	v_add_f64 v[6:7], v[6:7], v[60:61]
	v_add_f64 v[12:13], v[12:13], v[14:15]
	;; [unrolled: 1-line block ×3, first 2 shown]
	v_fmac_f64_e32 v[46:47], s[6:7], v[12:13]
	v_fmac_f64_e32 v[40:41], s[6:7], v[12:13]
	v_add_f64 v[12:13], v[6:7], v[58:59]
	v_add_f64 v[6:7], v[60:61], v[158:159]
	v_fma_f64 v[6:7], -0.5, v[6:7], v[100:101]
	v_add_f64 v[10:11], v[62:63], -v[28:29]
	v_fmac_f64_e32 v[34:35], v[50:51], v[68:69]
	v_fma_f64 v[14:15], s[0:1], v[10:11], v[6:7]
	v_add_f64 v[16:17], v[152:153], -v[156:157]
	v_add_f64 v[18:19], v[148:149], -v[60:61]
	;; [unrolled: 1-line block ×3, first 2 shown]
	v_fmac_f64_e32 v[6:7], s[10:11], v[10:11]
	ds_read_b64 v[50:51], v181
	ds_read_b64 v[52:53], v182
	v_fmac_f64_e32 v[14:15], s[2:3], v[16:17]
	v_add_f64 v[18:19], v[18:19], v[20:21]
	v_fmac_f64_e32 v[6:7], s[12:13], v[16:17]
	v_fmac_f64_e32 v[14:15], s[6:7], v[18:19]
	;; [unrolled: 1-line block ×3, first 2 shown]
	v_add_f64 v[18:19], v[148:149], v[58:59]
	v_fmac_f64_e32 v[100:101], -0.5, v[18:19]
	v_add_f64 v[18:19], v[60:61], -v[148:149]
	v_add_f64 v[20:21], v[158:159], -v[58:59]
	v_add_f64 v[20:21], v[18:19], v[20:21]
	v_fma_f64 v[18:19], s[10:11], v[16:17], v[100:101]
	v_fmac_f64_e32 v[100:101], s[0:1], v[16:17]
	v_fmac_f64_e32 v[18:19], s[2:3], v[10:11]
	;; [unrolled: 1-line block ×3, first 2 shown]
	s_waitcnt lgkmcnt(0)
	v_add_f64 v[10:11], v[52:53], v[62:63]
	v_add_f64 v[10:11], v[10:11], v[152:153]
	;; [unrolled: 1-line block ×5, first 2 shown]
	v_fma_f64 v[56:57], -0.5, v[10:11], v[52:53]
	v_add_f64 v[10:11], v[148:149], -v[58:59]
	v_fmac_f64_e32 v[18:19], s[6:7], v[20:21]
	v_fmac_f64_e32 v[100:101], s[6:7], v[20:21]
	v_fma_f64 v[58:59], s[10:11], v[10:11], v[56:57]
	v_add_f64 v[16:17], v[60:61], -v[158:159]
	v_add_f64 v[20:21], v[62:63], -v[152:153]
	;; [unrolled: 1-line block ×3, first 2 shown]
	v_fmac_f64_e32 v[56:57], s[0:1], v[10:11]
	v_fmac_f64_e32 v[58:59], s[12:13], v[16:17]
	v_add_f64 v[20:21], v[20:21], v[22:23]
	v_fmac_f64_e32 v[56:57], s[2:3], v[16:17]
	v_fmac_f64_e32 v[58:59], s[6:7], v[20:21]
	;; [unrolled: 1-line block ×3, first 2 shown]
	v_add_f64 v[20:21], v[62:63], v[28:29]
	v_fmac_f64_e32 v[52:53], -0.5, v[20:21]
	v_fma_f64 v[60:61], s[0:1], v[16:17], v[52:53]
	v_fmac_f64_e32 v[52:53], s[10:11], v[16:17]
	v_fmac_f64_e32 v[60:61], s[12:13], v[10:11]
	;; [unrolled: 1-line block ×3, first 2 shown]
	v_add_f64 v[10:11], v[98:99], v[142:143]
	v_add_f64 v[10:11], v[10:11], v[76:77]
	;; [unrolled: 1-line block ×3, first 2 shown]
	v_add_f64 v[20:21], v[152:153], -v[62:63]
	v_add_f64 v[22:23], v[156:157], -v[28:29]
	v_add_f64 v[24:25], v[10:11], v[66:67]
	v_add_f64 v[10:11], v[76:77], v[74:75]
	;; [unrolled: 1-line block ×3, first 2 shown]
	v_fma_f64 v[10:11], -0.5, v[10:11], v[98:99]
	v_add_f64 v[16:17], v[36:37], -v[154:155]
	v_fmac_f64_e32 v[60:61], s[6:7], v[20:21]
	v_fmac_f64_e32 v[52:53], s[6:7], v[20:21]
	v_fma_f64 v[28:29], s[0:1], v[16:17], v[10:11]
	v_add_f64 v[22:23], v[38:39], -v[32:33]
	v_add_f64 v[20:21], v[142:143], -v[76:77]
	v_add_f64 v[26:27], v[66:67], -v[74:75]
	v_fmac_f64_e32 v[10:11], s[10:11], v[16:17]
	v_fmac_f64_e32 v[28:29], s[2:3], v[22:23]
	v_add_f64 v[20:21], v[20:21], v[26:27]
	v_fmac_f64_e32 v[10:11], s[12:13], v[22:23]
	v_fmac_f64_e32 v[28:29], s[6:7], v[20:21]
	v_fmac_f64_e32 v[10:11], s[6:7], v[20:21]
	v_add_f64 v[20:21], v[142:143], v[66:67]
	v_fmac_f64_e32 v[98:99], -0.5, v[20:21]
	v_add_f64 v[20:21], v[76:77], -v[142:143]
	v_add_f64 v[26:27], v[74:75], -v[66:67]
	v_add_f64 v[26:27], v[20:21], v[26:27]
	v_fma_f64 v[20:21], s[10:11], v[22:23], v[98:99]
	v_fmac_f64_e32 v[98:99], s[0:1], v[22:23]
	v_fmac_f64_e32 v[20:21], s[2:3], v[16:17]
	;; [unrolled: 1-line block ×3, first 2 shown]
	v_add_f64 v[16:17], v[50:51], v[36:37]
	v_add_f64 v[16:17], v[16:17], v[38:39]
	;; [unrolled: 1-line block ×5, first 2 shown]
	v_fma_f64 v[64:65], -0.5, v[16:17], v[50:51]
	v_add_f64 v[16:17], v[142:143], -v[66:67]
	v_fmac_f64_e32 v[20:21], s[6:7], v[26:27]
	v_fmac_f64_e32 v[98:99], s[6:7], v[26:27]
	v_fma_f64 v[66:67], s[10:11], v[16:17], v[64:65]
	v_add_f64 v[22:23], v[76:77], -v[74:75]
	v_add_f64 v[26:27], v[36:37], -v[38:39]
	;; [unrolled: 1-line block ×3, first 2 shown]
	v_fmac_f64_e32 v[64:65], s[0:1], v[16:17]
	v_fmac_f64_e32 v[66:67], s[12:13], v[22:23]
	v_add_f64 v[26:27], v[26:27], v[68:69]
	v_fmac_f64_e32 v[64:65], s[2:3], v[22:23]
	v_fmac_f64_e32 v[66:67], s[6:7], v[26:27]
	v_fmac_f64_e32 v[64:65], s[6:7], v[26:27]
	v_add_f64 v[26:27], v[36:37], v[154:155]
	v_fmac_f64_e32 v[50:51], -0.5, v[26:27]
	v_fma_f64 v[68:69], s[0:1], v[22:23], v[50:51]
	v_fmac_f64_e32 v[50:51], s[10:11], v[22:23]
	v_fmac_f64_e32 v[68:69], s[12:13], v[16:17]
	;; [unrolled: 1-line block ×3, first 2 shown]
	v_add_f64 v[16:17], v[96:97], v[78:79]
	v_add_f64 v[16:17], v[16:17], v[80:81]
	;; [unrolled: 1-line block ×3, first 2 shown]
	v_add_f64 v[26:27], v[38:39], -v[36:37]
	v_add_f64 v[32:33], v[32:33], -v[154:155]
	v_add_f64 v[22:23], v[16:17], v[150:151]
	v_add_f64 v[16:17], v[80:81], v[86:87]
	;; [unrolled: 1-line block ×3, first 2 shown]
	v_fma_f64 v[16:17], -0.5, v[16:17], v[96:97]
	v_add_f64 v[36:37], v[30:31], -v[84:85]
	v_fmac_f64_e32 v[68:69], s[6:7], v[26:27]
	v_fmac_f64_e32 v[50:51], s[6:7], v[26:27]
	v_fma_f64 v[26:27], s[0:1], v[36:37], v[16:17]
	v_add_f64 v[38:39], v[34:35], -v[82:83]
	v_add_f64 v[32:33], v[78:79], -v[80:81]
	;; [unrolled: 1-line block ×3, first 2 shown]
	v_fmac_f64_e32 v[16:17], s[10:11], v[36:37]
	v_fmac_f64_e32 v[26:27], s[2:3], v[38:39]
	v_add_f64 v[32:33], v[32:33], v[74:75]
	v_fmac_f64_e32 v[16:17], s[12:13], v[38:39]
	v_fmac_f64_e32 v[26:27], s[6:7], v[32:33]
	;; [unrolled: 1-line block ×3, first 2 shown]
	v_add_f64 v[32:33], v[78:79], v[150:151]
	v_fmac_f64_e32 v[96:97], -0.5, v[32:33]
	v_add_f64 v[32:33], v[80:81], -v[78:79]
	v_add_f64 v[74:75], v[86:87], -v[150:151]
	v_add_f64 v[74:75], v[32:33], v[74:75]
	v_fma_f64 v[32:33], s[10:11], v[38:39], v[96:97]
	v_fmac_f64_e32 v[96:97], s[0:1], v[38:39]
	v_fmac_f64_e32 v[32:33], s[2:3], v[36:37]
	;; [unrolled: 1-line block ×3, first 2 shown]
	v_add_f64 v[36:37], v[42:43], v[30:31]
	v_add_f64 v[36:37], v[36:37], v[34:35]
	;; [unrolled: 1-line block ×3, first 2 shown]
	v_fmac_f64_e32 v[32:33], s[6:7], v[74:75]
	v_fmac_f64_e32 v[96:97], s[6:7], v[74:75]
	v_add_f64 v[74:75], v[36:37], v[84:85]
	v_add_f64 v[36:37], v[34:35], v[82:83]
	v_fma_f64 v[76:77], -0.5, v[36:37], v[42:43]
	v_add_f64 v[36:37], v[78:79], -v[150:151]
	v_fma_f64 v[78:79], s[10:11], v[36:37], v[76:77]
	v_add_f64 v[38:39], v[80:81], -v[86:87]
	v_add_f64 v[80:81], v[30:31], -v[34:35]
	v_add_f64 v[86:87], v[84:85], -v[82:83]
	v_fmac_f64_e32 v[76:77], s[0:1], v[36:37]
	v_fmac_f64_e32 v[78:79], s[12:13], v[38:39]
	v_add_f64 v[80:81], v[80:81], v[86:87]
	v_fmac_f64_e32 v[76:77], s[2:3], v[38:39]
	v_fmac_f64_e32 v[78:79], s[6:7], v[80:81]
	;; [unrolled: 1-line block ×3, first 2 shown]
	v_add_f64 v[80:81], v[30:31], v[84:85]
	v_fmac_f64_e32 v[42:43], -0.5, v[80:81]
	v_fma_f64 v[80:81], s[0:1], v[38:39], v[42:43]
	v_add_f64 v[30:31], v[34:35], -v[30:31]
	v_add_f64 v[34:35], v[82:83], -v[84:85]
	v_fmac_f64_e32 v[42:43], s[10:11], v[38:39]
	v_fmac_f64_e32 v[80:81], s[12:13], v[36:37]
	v_add_f64 v[30:31], v[30:31], v[34:35]
	v_fmac_f64_e32 v[42:43], s[2:3], v[36:37]
	v_fmac_f64_e32 v[80:81], s[6:7], v[30:31]
	;; [unrolled: 1-line block ×3, first 2 shown]
	v_add_f64 v[30:31], v[88:89], v[90:91]
	v_fma_f64 v[30:31], -0.5, v[30:31], v[94:95]
	v_add_f64 v[84:85], v[108:109], -v[118:119]
	v_fma_f64 v[36:37], s[0:1], v[84:85], v[30:31]
	v_add_f64 v[82:83], v[110:111], -v[114:115]
	v_add_f64 v[34:35], v[112:113], -v[88:89]
	;; [unrolled: 1-line block ×3, first 2 shown]
	v_fmac_f64_e32 v[30:31], s[10:11], v[84:85]
	v_fmac_f64_e32 v[36:37], s[2:3], v[82:83]
	v_add_f64 v[34:35], v[34:35], v[86:87]
	v_fmac_f64_e32 v[30:31], s[12:13], v[82:83]
	v_fmac_f64_e32 v[36:37], s[6:7], v[34:35]
	;; [unrolled: 1-line block ×3, first 2 shown]
	v_add_f64 v[34:35], v[112:113], v[136:137]
	v_add_f64 v[38:39], v[94:95], v[112:113]
	v_fmac_f64_e32 v[94:95], -0.5, v[34:35]
	v_add_f64 v[34:35], v[88:89], -v[112:113]
	v_add_f64 v[86:87], v[90:91], -v[136:137]
	ds_read_b64 v[48:49], v180
	v_add_f64 v[86:87], v[34:35], v[86:87]
	v_fma_f64 v[34:35], s[10:11], v[82:83], v[94:95]
	v_fmac_f64_e32 v[94:95], s[0:1], v[82:83]
	ds_read_b64 v[82:83], v179
	v_fmac_f64_e32 v[34:35], s[2:3], v[84:85]
	v_fmac_f64_e32 v[94:95], s[12:13], v[84:85]
	v_add_f64 v[38:39], v[38:39], v[88:89]
	v_fmac_f64_e32 v[34:35], s[6:7], v[86:87]
	v_fmac_f64_e32 v[94:95], s[6:7], v[86:87]
	v_add_f64 v[86:87], v[110:111], v[114:115]
	v_add_f64 v[38:39], v[38:39], v[90:91]
	s_waitcnt lgkmcnt(0)
	v_fma_f64 v[86:87], -0.5, v[86:87], v[82:83]
	v_add_f64 v[104:105], v[112:113], -v[136:137]
	v_add_f64 v[106:107], v[88:89], -v[90:91]
	;; [unrolled: 1-line block ×4, first 2 shown]
	v_add_f64 v[90:91], v[88:89], v[90:91]
	v_fma_f64 v[88:89], s[10:11], v[104:105], v[86:87]
	v_fmac_f64_e32 v[86:87], s[0:1], v[104:105]
	v_fmac_f64_e32 v[88:89], s[12:13], v[106:107]
	;; [unrolled: 1-line block ×5, first 2 shown]
	v_add_f64 v[90:91], v[108:109], v[118:119]
	v_add_f64 v[84:85], v[82:83], v[108:109]
	v_fmac_f64_e32 v[82:83], -0.5, v[90:91]
	v_add_f64 v[84:85], v[84:85], v[110:111]
	v_fma_f64 v[90:91], s[0:1], v[106:107], v[82:83]
	v_add_f64 v[108:109], v[110:111], -v[108:109]
	v_add_f64 v[110:111], v[114:115], -v[118:119]
	v_fmac_f64_e32 v[82:83], s[10:11], v[106:107]
	v_fmac_f64_e32 v[90:91], s[12:13], v[104:105]
	v_add_f64 v[108:109], v[108:109], v[110:111]
	v_fmac_f64_e32 v[82:83], s[2:3], v[104:105]
	v_add_f64 v[104:105], v[134:135], v[144:145]
	v_add_f64 v[84:85], v[84:85], v[114:115]
	v_fmac_f64_e32 v[90:91], s[6:7], v[108:109]
	v_fmac_f64_e32 v[82:83], s[6:7], v[108:109]
	v_fma_f64 v[104:105], -0.5, v[104:105], v[92:93]
	v_add_f64 v[112:113], v[120:121], -v[140:141]
	v_add_f64 v[108:109], v[116:117], -v[134:135]
	;; [unrolled: 1-line block ×3, first 2 shown]
	v_fma_f64 v[106:107], s[0:1], v[112:113], v[104:105]
	v_add_f64 v[108:109], v[108:109], v[114:115]
	v_add_f64 v[114:115], v[122:123], -v[138:139]
	v_fmac_f64_e32 v[104:105], s[10:11], v[112:113]
	v_fmac_f64_e32 v[106:107], s[2:3], v[114:115]
	;; [unrolled: 1-line block ×5, first 2 shown]
	v_add_f64 v[108:109], v[116:117], v[146:147]
	v_add_f64 v[84:85], v[84:85], v[118:119]
	;; [unrolled: 1-line block ×3, first 2 shown]
	v_fmac_f64_e32 v[92:93], -0.5, v[108:109]
	v_add_f64 v[108:109], v[134:135], -v[116:117]
	v_add_f64 v[118:119], v[144:145], -v[146:147]
	v_add_f64 v[118:119], v[108:109], v[118:119]
	v_fma_f64 v[108:109], s[10:11], v[114:115], v[92:93]
	v_fmac_f64_e32 v[92:93], s[0:1], v[114:115]
	v_fmac_f64_e32 v[108:109], s[2:3], v[112:113]
	;; [unrolled: 1-line block ×3, first 2 shown]
	v_add_f64 v[114:115], v[122:123], v[138:139]
	v_add_f64 v[38:39], v[38:39], v[136:137]
	v_fmac_f64_e32 v[108:109], s[6:7], v[118:119]
	v_fmac_f64_e32 v[92:93], s[6:7], v[118:119]
	v_fma_f64 v[114:115], -0.5, v[114:115], v[48:49]
	v_add_f64 v[136:137], v[116:117], -v[146:147]
	v_add_f64 v[116:117], v[120:121], -v[122:123]
	;; [unrolled: 1-line block ×3, first 2 shown]
	v_add_f64 v[110:111], v[110:111], v[134:135]
	v_add_f64 v[134:135], v[134:135], -v[144:145]
	v_add_f64 v[118:119], v[116:117], v[118:119]
	v_fma_f64 v[116:117], s[10:11], v[136:137], v[114:115]
	v_fmac_f64_e32 v[114:115], s[0:1], v[136:137]
	v_fmac_f64_e32 v[116:117], s[12:13], v[134:135]
	;; [unrolled: 1-line block ×5, first 2 shown]
	v_add_f64 v[118:119], v[120:121], v[140:141]
	v_add_f64 v[112:113], v[48:49], v[120:121]
	v_fmac_f64_e32 v[48:49], -0.5, v[118:119]
	v_add_f64 v[112:113], v[112:113], v[122:123]
	v_fma_f64 v[118:119], s[0:1], v[134:135], v[48:49]
	v_add_f64 v[120:121], v[122:123], -v[120:121]
	v_add_f64 v[122:123], v[138:139], -v[140:141]
	v_fmac_f64_e32 v[48:49], s[10:11], v[134:135]
	v_fmac_f64_e32 v[118:119], s[12:13], v[136:137]
	v_add_f64 v[120:121], v[120:121], v[122:123]
	v_fmac_f64_e32 v[48:49], s[2:3], v[136:137]
	v_fmac_f64_e32 v[118:119], s[6:7], v[120:121]
	;; [unrolled: 1-line block ×3, first 2 shown]
	v_mov_b32_e32 v120, 3
	v_mul_u32_u24_e32 v121, 0x190, v170
	v_lshlrev_b32_sdwa v122, v120, v171 dst_sel:DWORD dst_unused:UNUSED_PAD src0_sel:DWORD src1_sel:BYTE_0
	v_add3_u32 v121, 0, v121, v122
	s_mov_b32 s10, 0x5040100
	s_barrier
	s_movk_i32 s0, 0x190
	ds_write2_b64 v121, v[2:3], v[4:5] offset1:10
	ds_write2_b64 v121, v[8:9], v[102:103] offset0:20 offset1:30
	ds_write_b64 v121, v[0:1] offset:320
	v_perm_b32 v0, v161, v165, s10
	v_pk_mul_lo_u16 v0, v0, s0 op_sel_hi:[1,0]
	v_lshlrev_b32_e32 v2, 3, v160
	v_lshrrev_b32_e32 v1, 16, v0
	v_add3_u32 v122, 0, v1, v2
	v_and_b32_e32 v0, 0xfff0, v0
	v_lshlrev_b32_e32 v1, 3, v162
	v_add3_u32 v123, 0, v0, v1
	v_perm_b32 v0, v164, v167, s10
	v_pk_mul_lo_u16 v0, v0, s0 op_sel_hi:[1,0]
	v_lshlrev_b32_e32 v2, 3, v163
	v_lshrrev_b32_e32 v1, 16, v0
	v_add3_u32 v134, 0, v1, v2
	v_and_b32_e32 v0, 0xfff0, v0
	v_lshlrev_b32_e32 v1, 3, v166
	v_add_f64 v[110:111], v[110:111], v[144:145]
	v_add3_u32 v135, 0, v0, v1
	v_mul_u32_u24_e32 v0, 0x190, v168
	v_lshlrev_b32_e32 v1, 3, v169
	v_add_f64 v[110:111], v[110:111], v[146:147]
	v_add_f64 v[112:113], v[112:113], v[138:139]
	v_add3_u32 v136, 0, v0, v1
	v_add_u32_e32 v184, 0x5400, v176
	v_add_u32_e32 v185, 0x3000, v176
	;; [unrolled: 1-line block ×9, first 2 shown]
	v_add_f64 v[112:113], v[112:113], v[140:141]
	ds_write2_b64 v122, v[12:13], v[14:15] offset1:10
	ds_write2_b64 v122, v[18:19], v[100:101] offset0:20 offset1:30
	ds_write_b64 v122, v[6:7] offset:320
	ds_write2_b64 v123, v[24:25], v[28:29] offset1:10
	ds_write2_b64 v123, v[20:21], v[98:99] offset0:20 offset1:30
	ds_write_b64 v123, v[10:11] offset:320
	;; [unrolled: 3-line block ×5, first 2 shown]
	s_waitcnt lgkmcnt(0)
	s_barrier
	ds_read_b64 v[110:111], v176
	ds_read2_b64 v[36:39], v183 offset0:70 offset1:205
	ds_read2_b64 v[32:35], v184 offset0:12 offset1:147
	ds_read_b64 v[108:109], v182
	ds_read_b64 v[104:105], v181
	ds_read2_b64 v[28:31], v185 offset0:84 offset1:219
	ds_read2_b64 v[24:27], v186 offset0:26 offset1:161
	;; [unrolled: 1-line block ×4, first 2 shown]
	ds_read_b64 v[100:101], v179
	ds_read_b64 v[106:107], v177
	;; [unrolled: 1-line block ×3, first 2 shown]
	ds_read2_b64 v[12:15], v189 offset0:112 offset1:247
	ds_read2_b64 v[8:11], v190 offset0:54 offset1:189
	v_lshl_add_u32 v191, v173, 3, 0
	v_lshl_add_u32 v192, v130, 3, 0
	ds_read2_b64 v[4:7], v193 offset0:62 offset1:197
	ds_read2_b64 v[0:3], v194 offset0:68 offset1:203
	v_lshl_add_u32 v195, v131, 3, 0
	ds_read_b64 v[102:103], v180
	ds_read_b64 v[96:97], v191
	;; [unrolled: 1-line block ×4, first 2 shown]
	s_waitcnt lgkmcnt(0)
	s_barrier
	ds_write2_b64 v121, v[70:71], v[72:73] offset1:10
	ds_write2_b64 v121, v[46:47], v[40:41] offset0:20 offset1:30
	ds_write_b64 v121, v[44:45] offset:320
	ds_write2_b64 v122, v[54:55], v[58:59] offset1:10
	ds_write2_b64 v122, v[60:61], v[52:53] offset0:20 offset1:30
	ds_write_b64 v122, v[56:57] offset:320
	ds_write2_b64 v123, v[62:63], v[66:67] offset1:10
	ds_write2_b64 v123, v[68:69], v[50:51] offset0:20 offset1:30
	ds_write_b64 v123, v[64:65] offset:320
	ds_write2_b64 v134, v[74:75], v[78:79] offset1:10
	ds_write2_b64 v134, v[80:81], v[42:43] offset0:20 offset1:30
	ds_write_b64 v134, v[76:77] offset:320
	ds_write2_b64 v135, v[84:85], v[88:89] offset1:10
	ds_write2_b64 v135, v[90:91], v[82:83] offset0:20 offset1:30
	ds_write_b64 v135, v[86:87] offset:320
	ds_write2_b64 v136, v[112:113], v[116:117] offset1:10
	ds_write2_b64 v136, v[118:119], v[48:49] offset0:20 offset1:30
	ds_write_b64 v136, v[114:115] offset:320
	v_mov_b32_e32 v40, 41
	v_mul_lo_u16_sdwa v40, v172, v40 dst_sel:DWORD dst_unused:UNUSED_PAD src0_sel:BYTE_0 src1_sel:DWORD
	v_lshrrev_b16_e32 v114, 11, v40
	v_mul_lo_u16_e32 v40, 50, v114
	v_sub_u16_e32 v115, v172, v40
	v_mov_b32_e32 v40, 5
	v_lshlrev_b32_sdwa v56, v40, v115 dst_sel:DWORD dst_unused:UNUSED_PAD src0_sel:DWORD src1_sel:BYTE_0
	v_lshrrev_b16_e32 v40, 1, v133
	v_mul_u32_u24_e32 v40, 0x147b, v40
	v_lshrrev_b32_e32 v116, 17, v40
	v_mul_lo_u16_e32 v40, 50, v116
	v_sub_u16_e32 v117, v133, v40
	s_waitcnt lgkmcnt(0)
	s_barrier
	global_load_dwordx4 v[48:51], v56, s[4:5] offset:640
	v_lshlrev_b32_e32 v57, 5, v117
	v_lshrrev_b16_e32 v198, 1, v132
	global_load_dwordx4 v[52:55], v57, s[4:5] offset:640
	global_load_dwordx4 v[44:47], v56, s[4:5] offset:656
	;; [unrolled: 1-line block ×3, first 2 shown]
	v_mul_u32_u24_e32 v56, 0x147b, v198
	v_lshrrev_b32_e32 v118, 17, v56
	v_mul_lo_u16_e32 v56, 50, v118
	v_sub_u16_e32 v119, v132, v56
	v_lshlrev_b32_e32 v64, 5, v119
	v_lshrrev_b16_e32 v199, 1, v127
	global_load_dwordx4 v[56:59], v64, s[4:5] offset:656
	global_load_dwordx4 v[60:63], v64, s[4:5] offset:640
	v_mul_u32_u24_e32 v64, 0x147b, v199
	v_lshrrev_b32_e32 v121, 17, v64
	v_lshrrev_b16_e32 v196, 1, v126
	v_mul_lo_u16_e32 v64, 50, v121
	v_mul_u32_u24_e32 v72, 0x147b, v196
	v_sub_u16_e32 v122, v127, v64
	v_lshrrev_b32_e32 v123, 17, v72
	v_lshlrev_b32_e32 v68, 5, v122
	v_mul_lo_u16_e32 v72, 50, v123
	global_load_dwordx4 v[64:67], v68, s[4:5] offset:656
	s_nop 0
	global_load_dwordx4 v[68:71], v68, s[4:5] offset:640
	v_sub_u16_e32 v204, v126, v72
	v_lshlrev_b32_e32 v80, 5, v204
	v_lshrrev_b16_e32 v197, 1, v128
	global_load_dwordx4 v[72:75], v80, s[4:5] offset:640
	v_mul_u32_u24_e32 v76, 0x147b, v197
	v_lshrrev_b32_e32 v205, 17, v76
	v_mul_lo_u16_e32 v76, 50, v205
	v_sub_u16_e32 v206, v128, v76
	v_lshrrev_b16_e32 v201, 1, v129
	v_lshlrev_b32_e32 v84, 5, v206
	v_mul_u32_u24_e32 v112, 0x147b, v201
	global_load_dwordx4 v[76:79], v84, s[4:5] offset:640
	s_nop 0
	global_load_dwordx4 v[80:83], v80, s[4:5] offset:656
	v_lshrrev_b32_e32 v207, 17, v112
	global_load_dwordx4 v[84:87], v84, s[4:5] offset:656
	v_mul_lo_u16_e32 v112, 50, v207
	v_sub_u16_e32 v209, v129, v112
	v_lshlrev_b32_e32 v112, 5, v209
	v_lshrrev_b16_e32 v202, 1, v173
	ds_read2_b64 v[88:91], v183 offset0:70 offset1:205
	global_load_dwordx4 v[136:139], v112, s[4:5] offset:656
	global_load_dwordx4 v[142:145], v112, s[4:5] offset:640
	v_mul_u32_u24_e32 v112, 0x147b, v202
	v_lshrrev_b32_e32 v208, 17, v112
	v_mul_lo_u16_e32 v112, 50, v208
	v_sub_u16_e32 v210, v173, v112
	v_lshlrev_b32_e32 v112, 5, v210
	v_lshrrev_b16_e32 v200, 1, v130
	global_load_dwordx4 v[146:149], v112, s[4:5] offset:640
	global_load_dwordx4 v[150:153], v112, s[4:5] offset:656
	v_mul_u32_u24_e32 v112, 0x147b, v200
	v_lshrrev_b32_e32 v212, 17, v112
	v_mul_lo_u16_e32 v112, 50, v212
	v_sub_u16_e32 v211, v130, v112
	v_lshlrev_b32_e32 v134, 5, v211
	v_lshrrev_b16_e32 v203, 1, v131
	v_mul_u32_u24_e32 v112, 0x147b, v203
	global_load_dwordx4 v[154:157], v134, s[4:5] offset:640
	global_load_dwordx4 v[162:165], v134, s[4:5] offset:656
	v_lshrrev_b32_e32 v226, 17, v112
	v_mul_lo_u16_e32 v112, 50, v226
	v_sub_u16_e32 v213, v131, v112
	v_lshlrev_b32_e32 v135, 5, v213
	global_load_dwordx4 v[158:161], v135, s[4:5] offset:640
	global_load_dwordx4 v[214:217], v135, s[4:5] offset:656
	ds_read2_b64 v[166:169], v184 offset0:12 offset1:147
	ds_read2_b64 v[218:221], v185 offset0:84 offset1:219
	;; [unrolled: 1-line block ×3, first 2 shown]
	s_mov_b32 s2, 0xe8584caa
	s_mov_b32 s3, 0x3febb67a
	;; [unrolled: 1-line block ×4, first 2 shown]
	s_movk_i32 s0, 0x4b0
	s_movk_i32 s12, 0x1000
	;; [unrolled: 1-line block ×3, first 2 shown]
	s_waitcnt vmcnt(19) lgkmcnt(3)
	v_mul_f64 v[112:113], v[88:89], v[50:51]
	v_fma_f64 v[112:113], v[36:37], v[48:49], -v[112:113]
	v_mul_f64 v[36:37], v[36:37], v[50:51]
	v_fmac_f64_e32 v[36:37], v[88:89], v[48:49]
	s_waitcnt vmcnt(18)
	v_mul_f64 v[48:49], v[90:91], v[54:55]
	v_fma_f64 v[48:49], v[38:39], v[52:53], -v[48:49]
	v_mul_f64 v[50:51], v[38:39], v[54:55]
	s_waitcnt vmcnt(17) lgkmcnt(2)
	v_mul_f64 v[38:39], v[166:167], v[46:47]
	v_fma_f64 v[38:39], v[32:33], v[44:45], -v[38:39]
	v_mul_f64 v[32:33], v[32:33], v[46:47]
	s_waitcnt vmcnt(16)
	v_mul_f64 v[88:89], v[34:35], v[42:43]
	v_fmac_f64_e32 v[32:33], v[166:167], v[44:45]
	v_mul_f64 v[44:45], v[168:169], v[42:43]
	v_fmac_f64_e32 v[88:89], v[168:169], v[40:41]
	ds_read2_b64 v[166:169], v186 offset0:26 offset1:161
	v_fma_f64 v[44:45], v[34:35], v[40:41], -v[44:45]
	s_waitcnt vmcnt(14) lgkmcnt(2)
	v_mul_f64 v[34:35], v[218:219], v[62:63]
	v_fmac_f64_e32 v[50:51], v[90:91], v[52:53]
	v_fma_f64 v[40:41], v[28:29], v[60:61], -v[34:35]
	v_mul_f64 v[52:53], v[28:29], v[62:63]
	s_waitcnt lgkmcnt(0)
	v_mul_f64 v[28:29], v[166:167], v[58:59]
	v_fmac_f64_e32 v[52:53], v[218:219], v[60:61]
	v_fma_f64 v[60:61], v[24:25], v[56:57], -v[28:29]
	v_mul_f64 v[90:91], v[24:25], v[58:59]
	s_waitcnt vmcnt(12)
	v_mul_f64 v[24:25], v[220:221], v[70:71]
	v_fma_f64 v[46:47], v[30:31], v[68:69], -v[24:25]
	v_mul_f64 v[24:25], v[168:169], v[66:67]
	v_mul_f64 v[58:59], v[30:31], v[70:71]
	v_fma_f64 v[62:63], v[26:27], v[64:65], -v[24:25]
	s_waitcnt vmcnt(11)
	v_mul_f64 v[24:25], v[222:223], v[74:75]
	v_fmac_f64_e32 v[58:59], v[220:221], v[68:69]
	v_mul_f64 v[68:69], v[26:27], v[66:67]
	v_fma_f64 v[54:55], v[20:21], v[72:73], -v[24:25]
	ds_read2_b64 v[24:27], v188 offset0:40 offset1:175
	v_fmac_f64_e32 v[68:69], v[168:169], v[64:65]
	v_mul_f64 v[64:65], v[20:21], v[74:75]
	s_waitcnt vmcnt(10)
	v_mul_f64 v[20:21], v[224:225], v[78:79]
	v_fma_f64 v[42:43], v[22:23], v[76:77], -v[20:21]
	s_waitcnt vmcnt(9) lgkmcnt(0)
	v_mul_f64 v[20:21], v[24:25], v[82:83]
	v_fmac_f64_e32 v[90:91], v[166:167], v[56:57]
	v_mul_f64 v[56:57], v[22:23], v[78:79]
	v_fma_f64 v[134:135], v[16:17], v[80:81], -v[20:21]
	v_mul_f64 v[140:141], v[16:17], v[82:83]
	s_waitcnt vmcnt(8)
	v_mul_f64 v[16:17], v[26:27], v[86:87]
	ds_read2_b64 v[20:23], v189 offset0:112 offset1:247
	v_fma_f64 v[74:75], v[18:19], v[84:85], -v[16:17]
	v_mul_f64 v[86:87], v[18:19], v[86:87]
	ds_read2_b64 v[16:19], v190 offset0:54 offset1:189
	v_fmac_f64_e32 v[140:141], v[24:25], v[80:81]
	s_waitcnt vmcnt(6) lgkmcnt(1)
	v_mul_f64 v[24:25], v[20:21], v[144:145]
	v_fmac_f64_e32 v[56:57], v[224:225], v[76:77]
	v_fma_f64 v[66:67], v[12:13], v[142:143], -v[24:25]
	v_mul_f64 v[76:77], v[12:13], v[144:145]
	s_waitcnt lgkmcnt(0)
	v_mul_f64 v[12:13], v[16:17], v[138:139]
	v_fmac_f64_e32 v[76:77], v[20:21], v[142:143]
	v_fma_f64 v[80:81], v[8:9], v[136:137], -v[12:13]
	v_mul_f64 v[142:143], v[8:9], v[138:139]
	s_waitcnt vmcnt(5)
	v_mul_f64 v[8:9], v[22:23], v[148:149]
	v_fma_f64 v[70:71], v[14:15], v[146:147], -v[8:9]
	v_mul_f64 v[82:83], v[14:15], v[148:149]
	ds_read2_b64 v[12:15], v193 offset0:62 offset1:197
	s_waitcnt vmcnt(4)
	v_mul_f64 v[8:9], v[18:19], v[152:153]
	v_fmac_f64_e32 v[142:143], v[16:17], v[136:137]
	v_fma_f64 v[136:137], v[10:11], v[150:151], -v[8:9]
	v_mul_f64 v[144:145], v[10:11], v[152:153]
	s_waitcnt vmcnt(3) lgkmcnt(0)
	v_mul_f64 v[8:9], v[12:13], v[156:157]
	v_fma_f64 v[78:79], v[4:5], v[154:155], -v[8:9]
	ds_read2_b64 v[8:11], v194 offset0:68 offset1:203
	v_mul_f64 v[138:139], v[4:5], v[156:157]
	s_waitcnt vmcnt(1)
	v_mul_f64 v[4:5], v[14:15], v[160:161]
	v_fmac_f64_e32 v[64:65], v[222:223], v[72:73]
	v_fma_f64 v[72:73], v[6:7], v[158:159], -v[4:5]
	s_waitcnt lgkmcnt(0)
	v_mul_f64 v[4:5], v[8:9], v[164:165]
	v_fma_f64 v[148:149], v[0:1], v[162:163], -v[4:5]
	v_mul_f64 v[152:153], v[0:1], v[164:165]
	s_waitcnt vmcnt(0)
	v_mul_f64 v[0:1], v[10:11], v[216:217]
	v_fmac_f64_e32 v[82:83], v[22:23], v[146:147]
	v_fmac_f64_e32 v[144:145], v[18:19], v[150:151]
	v_fma_f64 v[146:147], v[2:3], v[214:215], -v[0:1]
	v_mul_f64 v[150:151], v[2:3], v[216:217]
	v_add_f64 v[2:3], v[112:113], v[38:39]
	v_add_f64 v[0:1], v[110:111], v[112:113]
	v_fmac_f64_e32 v[110:111], -0.5, v[2:3]
	v_lshlrev_b32_sdwa v2, v120, v115 dst_sel:DWORD dst_unused:UNUSED_PAD src0_sel:DWORD src1_sel:BYTE_0
	v_mul_u32_u24_e32 v3, 0x4b0, v114
	v_add3_u32 v220, 0, v3, v2
	v_add_f64 v[2:3], v[36:37], -v[32:33]
	v_fmac_f64_e32 v[86:87], v[26:27], v[84:85]
	v_mul_f64 v[84:85], v[6:7], v[160:161]
	v_add_f64 v[0:1], v[0:1], v[38:39]
	v_fma_f64 v[4:5], s[2:3], v[2:3], v[110:111]
	v_fmac_f64_e32 v[110:111], s[6:7], v[2:3]
	v_add_f64 v[2:3], v[48:49], v[44:45]
	v_fmac_f64_e32 v[138:139], v[12:13], v[154:155]
	v_fmac_f64_e32 v[84:85], v[14:15], v[158:159]
	;; [unrolled: 1-line block ×4, first 2 shown]
	ds_read_b64 v[214:215], v176
	ds_read_b64 v[170:171], v182
	;; [unrolled: 1-line block ×10, first 2 shown]
	s_waitcnt lgkmcnt(0)
	s_barrier
	ds_write2_b64 v220, v[0:1], v[4:5] offset1:50
	v_add_f64 v[0:1], v[108:109], v[48:49]
	v_fmac_f64_e32 v[108:109], -0.5, v[2:3]
	v_mul_u32_u24_e32 v2, 0x4b0, v116
	v_lshlrev_b32_e32 v3, 3, v117
	v_add3_u32 v221, 0, v2, v3
	v_add_f64 v[2:3], v[50:51], -v[88:89]
	v_add_f64 v[0:1], v[0:1], v[44:45]
	v_fma_f64 v[4:5], s[2:3], v[2:3], v[108:109]
	v_fmac_f64_e32 v[108:109], s[6:7], v[2:3]
	v_add_f64 v[2:3], v[40:41], v[60:61]
	ds_write_b64 v220, v[110:111] offset:800
	ds_write2_b64 v221, v[0:1], v[4:5] offset1:50
	v_add_f64 v[0:1], v[104:105], v[40:41]
	v_fmac_f64_e32 v[104:105], -0.5, v[2:3]
	v_mul_u32_u24_e32 v2, 0x4b0, v118
	v_lshlrev_b32_e32 v3, 3, v119
	v_add3_u32 v222, 0, v2, v3
	v_add_f64 v[2:3], v[52:53], -v[90:91]
	v_add_f64 v[0:1], v[0:1], v[60:61]
	v_fma_f64 v[4:5], s[2:3], v[2:3], v[104:105]
	v_fmac_f64_e32 v[104:105], s[6:7], v[2:3]
	v_add_f64 v[2:3], v[46:47], v[62:63]
	ds_write_b64 v221, v[108:109] offset:800
	;; [unrolled: 12-line block ×3, first 2 shown]
	ds_write2_b64 v223, v[0:1], v[4:5] offset1:50
	v_add_f64 v[0:1], v[100:101], v[54:55]
	v_fmac_f64_e32 v[100:101], -0.5, v[2:3]
	v_mul_u32_u24_e32 v2, 0x4b0, v123
	v_lshlrev_b32_e32 v3, 3, v204
	v_add3_u32 v204, 0, v2, v3
	v_add_f64 v[2:3], v[64:65], -v[140:141]
	v_add_f64 v[0:1], v[0:1], v[134:135]
	v_fma_f64 v[4:5], s[2:3], v[2:3], v[100:101]
	ds_write_b64 v223, v[106:107] offset:800
	ds_write2_b64 v204, v[0:1], v[4:5] offset1:50
	v_add_f64 v[0:1], v[214:215], v[36:37]
	v_add_f64 v[216:217], v[0:1], v[32:33]
	;; [unrolled: 1-line block ×3, first 2 shown]
	v_fmac_f64_e32 v[100:101], s[6:7], v[2:3]
	v_add_f64 v[2:3], v[42:43], v[74:75]
	v_fmac_f64_e32 v[214:215], -0.5, v[0:1]
	v_add_f64 v[0:1], v[102:103], v[42:43]
	v_fmac_f64_e32 v[102:103], -0.5, v[2:3]
	v_add_f64 v[2:3], v[56:57], -v[86:87]
	v_fma_f64 v[4:5], s[2:3], v[2:3], v[102:103]
	v_fmac_f64_e32 v[102:103], s[6:7], v[2:3]
	v_mul_u32_u24_e32 v2, 0x4b0, v205
	v_lshlrev_b32_e32 v3, 3, v206
	ds_write_b64 v204, v[100:101] offset:800
	v_add3_u32 v100, 0, v2, v3
	v_add_f64 v[0:1], v[0:1], v[74:75]
	v_add_f64 v[2:3], v[66:67], v[80:81]
	ds_write2_b64 v100, v[0:1], v[4:5] offset1:50
	v_add_f64 v[0:1], v[98:99], v[66:67]
	v_fmac_f64_e32 v[98:99], -0.5, v[2:3]
	v_add_f64 v[2:3], v[76:77], -v[142:143]
	v_add_f64 v[6:7], v[70:71], v[136:137]
	v_fma_f64 v[4:5], s[2:3], v[2:3], v[98:99]
	v_fmac_f64_e32 v[98:99], s[6:7], v[2:3]
	v_add_f64 v[2:3], v[96:97], v[70:71]
	v_fmac_f64_e32 v[96:97], -0.5, v[6:7]
	v_mul_u32_u24_e32 v6, 0x4b0, v207
	v_lshlrev_b32_e32 v7, 3, v209
	v_add_f64 v[0:1], v[0:1], v[80:81]
	v_add3_u32 v101, 0, v6, v7
	ds_write_b64 v100, v[102:103] offset:800
	ds_write2_b64 v101, v[0:1], v[4:5] offset1:50
	v_add_f64 v[0:1], v[82:83], -v[144:145]
	v_add_f64 v[6:7], v[78:79], v[148:149]
	v_fma_f64 v[4:5], s[2:3], v[0:1], v[96:97]
	v_fmac_f64_e32 v[96:97], s[6:7], v[0:1]
	v_add_f64 v[0:1], v[94:95], v[78:79]
	v_fmac_f64_e32 v[94:95], -0.5, v[6:7]
	v_add_f64 v[6:7], v[138:139], -v[152:153]
	v_add_f64 v[10:11], v[72:73], v[146:147]
	v_fma_f64 v[8:9], s[2:3], v[6:7], v[94:95]
	v_fmac_f64_e32 v[94:95], s[6:7], v[6:7]
	v_add_f64 v[6:7], v[92:93], v[72:73]
	v_fmac_f64_e32 v[92:93], -0.5, v[10:11]
	v_mul_u32_u24_e32 v10, 0x4b0, v208
	v_lshlrev_b32_e32 v11, 3, v210
	ds_write_b64 v101, v[98:99] offset:800
	v_add3_u32 v98, 0, v10, v11
	v_add_f64 v[2:3], v[2:3], v[136:137]
	ds_write2_b64 v98, v[2:3], v[4:5] offset1:50
	v_add_f64 v[2:3], v[84:85], -v[150:151]
	v_fma_f64 v[4:5], s[2:3], v[2:3], v[92:93]
	v_fmac_f64_e32 v[92:93], s[6:7], v[2:3]
	v_perm_b32 v2, v226, v212, s10
	v_pk_mul_lo_u16 v2, v2, s0 op_sel_hi:[1,0]
	v_lshlrev_b32_e32 v10, 3, v211
	v_and_b32_e32 v3, 0xfff0, v2
	v_add_f64 v[0:1], v[0:1], v[148:149]
	ds_write_b64 v98, v[96:97] offset:800
	v_add3_u32 v96, 0, v3, v10
	ds_write2_b64 v96, v[0:1], v[8:9] offset1:50
	ds_write_b64 v96, v[94:95] offset:800
	v_lshrrev_b32_e32 v0, 16, v2
	v_lshlrev_b32_e32 v1, 3, v213
	v_add_f64 v[218:219], v[112:113], -v[38:39]
	v_add_f64 v[6:7], v[6:7], v[146:147]
	v_add3_u32 v94, 0, v0, v1
	ds_write2_b64 v94, v[6:7], v[4:5] offset1:50
	ds_write_b64 v94, v[92:93] offset:800
	v_fma_f64 v[92:93], s[6:7], v[218:219], v[214:215]
	s_waitcnt lgkmcnt(0)
	s_barrier
	ds_read_b64 v[122:123], v176
	ds_read_b64 v[120:121], v182
	;; [unrolled: 1-line block ×10, first 2 shown]
	ds_read2_b64 v[36:39], v183 offset0:70 offset1:205
	ds_read2_b64 v[32:35], v184 offset0:12 offset1:147
	;; [unrolled: 1-line block ×10, first 2 shown]
	s_waitcnt lgkmcnt(0)
	s_barrier
	ds_write2_b64 v220, v[216:217], v[92:93] offset1:50
	v_add_f64 v[92:93], v[170:171], v[50:51]
	v_add_f64 v[50:51], v[50:51], v[88:89]
	v_fmac_f64_e32 v[170:171], -0.5, v[50:51]
	v_add_f64 v[44:45], v[48:49], -v[44:45]
	v_add_f64 v[50:51], v[52:53], v[90:91]
	v_fma_f64 v[48:49], s[6:7], v[44:45], v[170:171]
	v_fmac_f64_e32 v[170:171], s[2:3], v[44:45]
	v_add_f64 v[44:45], v[166:167], v[52:53]
	v_fmac_f64_e32 v[166:167], -0.5, v[50:51]
	v_add_f64 v[40:41], v[40:41], -v[60:61]
	v_add_f64 v[52:53], v[58:59], v[68:69]
	v_fma_f64 v[50:51], s[6:7], v[40:41], v[166:167]
	v_fmac_f64_e32 v[166:167], s[2:3], v[40:41]
	v_add_f64 v[40:41], v[168:169], v[58:59]
	v_fmac_f64_e32 v[168:169], -0.5, v[52:53]
	v_add_f64 v[46:47], v[46:47], -v[62:63]
	v_add_f64 v[58:59], v[64:65], v[140:141]
	v_fma_f64 v[52:53], s[6:7], v[46:47], v[168:169]
	v_fmac_f64_e32 v[168:169], s[2:3], v[46:47]
	v_add_f64 v[46:47], v[162:163], v[64:65]
	v_fmac_f64_e32 v[162:163], -0.5, v[58:59]
	v_add_f64 v[54:55], v[54:55], -v[134:135]
	v_fma_f64 v[58:59], s[6:7], v[54:55], v[162:163]
	v_fmac_f64_e32 v[162:163], s[2:3], v[54:55]
	v_add_f64 v[54:55], v[164:165], v[56:57]
	v_add_f64 v[56:57], v[56:57], v[86:87]
	v_fmac_f64_e32 v[164:165], -0.5, v[56:57]
	v_add_f64 v[42:43], v[42:43], -v[74:75]
	v_add_f64 v[60:61], v[76:77], v[142:143]
	v_fma_f64 v[56:57], s[6:7], v[42:43], v[164:165]
	v_fmac_f64_e32 v[164:165], s[2:3], v[42:43]
	v_add_f64 v[42:43], v[158:159], v[76:77]
	v_fmac_f64_e32 v[158:159], -0.5, v[60:61]
	v_add_f64 v[60:61], v[66:67], -v[80:81]
	v_add_f64 v[64:65], v[82:83], v[144:145]
	v_add_f64 v[40:41], v[40:41], v[68:69]
	v_fma_f64 v[62:63], s[6:7], v[60:61], v[158:159]
	v_fmac_f64_e32 v[158:159], s[2:3], v[60:61]
	v_add_f64 v[60:61], v[160:161], v[82:83]
	v_fmac_f64_e32 v[160:161], -0.5, v[64:65]
	v_add_f64 v[64:65], v[70:71], -v[136:137]
	v_add_f64 v[68:69], v[138:139], v[152:153]
	v_fma_f64 v[66:67], s[6:7], v[64:65], v[160:161]
	v_fmac_f64_e32 v[160:161], s[2:3], v[64:65]
	v_add_f64 v[64:65], v[156:157], v[138:139]
	v_fmac_f64_e32 v[156:157], -0.5, v[68:69]
	v_add_f64 v[68:69], v[78:79], -v[148:149]
	v_add_f64 v[74:75], v[84:85], v[150:151]
	v_fmac_f64_e32 v[214:215], s[2:3], v[218:219]
	v_add_f64 v[92:93], v[92:93], v[88:89]
	v_fma_f64 v[70:71], s[6:7], v[68:69], v[156:157]
	v_fmac_f64_e32 v[156:157], s[2:3], v[68:69]
	v_add_f64 v[68:69], v[154:155], v[84:85]
	v_fmac_f64_e32 v[154:155], -0.5, v[74:75]
	v_add_f64 v[72:73], v[72:73], -v[146:147]
	v_lshlrev_b32_e32 v102, 1, v172
	v_mov_b32_e32 v103, 0
	ds_write_b64 v220, v[214:215] offset:800
	v_add_f64 v[44:45], v[44:45], v[90:91]
	v_add_f64 v[46:47], v[46:47], v[140:141]
	;; [unrolled: 1-line block ×7, first 2 shown]
	v_fma_f64 v[74:75], s[6:7], v[72:73], v[154:155]
	v_fmac_f64_e32 v[154:155], s[2:3], v[72:73]
	ds_write2_b64 v221, v[92:93], v[48:49] offset1:50
	ds_write_b64 v221, v[170:171] offset:800
	ds_write2_b64 v222, v[44:45], v[50:51] offset1:50
	ds_write_b64 v222, v[166:167] offset:800
	;; [unrolled: 2-line block ×9, first 2 shown]
	v_lshl_add_u64 v[100:101], v[102:103], 4, s[4:5]
	s_waitcnt lgkmcnt(0)
	s_barrier
	global_load_dwordx4 v[44:47], v[100:101], off offset:2240
	global_load_dwordx4 v[40:43], v[100:101], off offset:2256
	v_add_u32_e32 v48, -15, v172
	v_cmp_gt_u32_e64 s[0:1], 15, v172
	v_mov_b32_e32 v49, v103
	v_mul_u32_u24_e32 v64, 0xda75, v199
	v_cndmask_b32_e64 v170, v48, v133, s[0:1]
	v_lshlrev_b32_e32 v48, 1, v170
	v_lshl_add_u64 v[56:57], v[48:49], 4, s[4:5]
	global_load_dwordx4 v[52:55], v[56:57], off offset:2240
	global_load_dwordx4 v[48:51], v[56:57], off offset:2256
	v_mul_u32_u24_e32 v56, 0xda75, v198
	v_lshrrev_b32_e32 v171, 22, v56
	v_mul_lo_u16_e32 v56, 0x96, v171
	v_sub_u16_e32 v198, v132, v56
	v_lshrrev_b32_e32 v204, 22, v64
	v_lshlrev_b32_e32 v56, 5, v198
	v_mul_lo_u16_e32 v64, 0x96, v204
	global_load_dwordx4 v[60:63], v56, s[4:5] offset:2240
	s_nop 0
	global_load_dwordx4 v[56:59], v56, s[4:5] offset:2256
	v_sub_u16_e32 v199, v127, v64
	v_lshlrev_b32_e32 v64, 5, v199
	global_load_dwordx4 v[68:71], v64, s[4:5] offset:2240
	s_nop 0
	global_load_dwordx4 v[64:67], v64, s[4:5] offset:2256
	v_mul_u32_u24_e32 v72, 0xda75, v196
	v_lshrrev_b32_e32 v208, 22, v72
	v_mul_lo_u16_e32 v72, 0x96, v208
	v_sub_u16_e32 v207, v126, v72
	v_lshlrev_b32_e32 v76, 5, v207
	global_load_dwordx4 v[72:75], v76, s[4:5] offset:2240
	v_mul_u32_u24_e32 v77, 0xda75, v197
	v_lshrrev_b32_e32 v206, 22, v77
	v_mul_lo_u16_e32 v77, 0x96, v206
	v_sub_u16_e32 v205, v128, v77
	v_lshlrev_b32_e32 v77, 5, v205
	global_load_dwordx4 v[84:87], v77, s[4:5] offset:2240
	global_load_dwordx4 v[80:83], v76, s[4:5] offset:2256
	s_nop 0
	global_load_dwordx4 v[76:79], v77, s[4:5] offset:2256
	v_mul_u32_u24_e32 v88, 0xda75, v201
	v_lshrrev_b32_e32 v209, 22, v88
	v_mul_u32_u24_e32 v96, 0xda75, v202
	v_mul_lo_u16_e32 v88, 0x96, v209
	v_lshrrev_b32_e32 v197, 22, v96
	v_sub_u16_e32 v201, v129, v88
	v_mul_lo_u16_e32 v96, 0x96, v197
	v_lshlrev_b32_e32 v88, 5, v201
	v_sub_u16_e32 v196, v173, v96
	global_load_dwordx4 v[92:95], v88, s[4:5] offset:2240
	s_nop 0
	global_load_dwordx4 v[88:91], v88, s[4:5] offset:2256
	v_lshlrev_b32_e32 v138, 5, v196
	global_load_dwordx4 v[96:99], v138, s[4:5] offset:2240
	global_load_dwordx4 v[158:161], v138, s[4:5] offset:2256
	v_mul_u32_u24_e32 v138, 0xda75, v200
	v_lshrrev_b32_e32 v210, 22, v138
	v_mul_lo_u16_e32 v138, 0x96, v210
	v_sub_u16_e32 v200, v130, v138
	v_lshlrev_b32_e32 v138, 5, v200
	ds_read2_b64 v[134:137], v183 offset0:70 offset1:205
	v_mul_u32_u24_e32 v139, 0xda75, v203
	global_load_dwordx4 v[162:165], v138, s[4:5] offset:2240
	v_lshrrev_b32_e32 v139, 22, v139
	v_mul_lo_u16_e32 v139, 0x96, v139
	v_sub_u16_e32 v202, v131, v139
	v_lshlrev_b32_e32 v144, 5, v202
	global_load_dwordx4 v[212:215], v144, s[4:5] offset:2240
	ds_read2_b64 v[140:143], v184 offset0:12 offset1:147
	ds_read2_b64 v[148:151], v185 offset0:84 offset1:219
	;; [unrolled: 1-line block ×3, first 2 shown]
	global_load_dwordx4 v[216:219], v138, s[4:5] offset:2256
	v_cmp_lt_u32_e64 s[0:1], 14, v172
	s_waitcnt vmcnt(18) lgkmcnt(3)
	v_mul_f64 v[138:139], v[134:135], v[46:47]
	v_fma_f64 v[166:167], v[36:37], v[44:45], -v[138:139]
	v_mul_f64 v[36:37], v[36:37], v[46:47]
	v_fmac_f64_e32 v[36:37], v[134:135], v[44:45]
	global_load_dwordx4 v[44:47], v144, s[4:5] offset:2256
	s_waitcnt vmcnt(18) lgkmcnt(2)
	v_mul_f64 v[134:135], v[140:141], v[42:43]
	v_fma_f64 v[168:169], v[32:33], v[40:41], -v[134:135]
	v_mul_f64 v[32:33], v[32:33], v[42:43]
	v_fmac_f64_e32 v[32:33], v[140:141], v[40:41]
	s_waitcnt vmcnt(17)
	v_mul_f64 v[40:41], v[136:137], v[54:55]
	v_fma_f64 v[134:135], v[38:39], v[52:53], -v[40:41]
	v_mul_f64 v[138:139], v[38:39], v[54:55]
	s_waitcnt vmcnt(16)
	v_mul_f64 v[38:39], v[142:143], v[50:51]
	v_fma_f64 v[140:141], v[34:35], v[48:49], -v[38:39]
	v_mul_f64 v[146:147], v[34:35], v[50:51]
	v_fmac_f64_e32 v[138:139], v[136:137], v[52:53]
	s_waitcnt vmcnt(15) lgkmcnt(1)
	v_mul_f64 v[34:35], v[148:149], v[62:63]
	v_fmac_f64_e32 v[146:147], v[142:143], v[48:49]
	v_fma_f64 v[136:137], v[28:29], v[60:61], -v[34:35]
	v_mul_f64 v[142:143], v[28:29], v[62:63]
	s_waitcnt vmcnt(14) lgkmcnt(0)
	v_mul_f64 v[28:29], v[152:153], v[58:59]
	v_fmac_f64_e32 v[142:143], v[148:149], v[60:61]
	v_fma_f64 v[144:145], v[24:25], v[56:57], -v[28:29]
	v_mul_f64 v[148:149], v[24:25], v[58:59]
	s_waitcnt vmcnt(13)
	v_mul_f64 v[24:25], v[150:151], v[70:71]
	v_fma_f64 v[60:61], v[30:31], v[68:69], -v[24:25]
	v_mul_f64 v[70:71], v[30:31], v[70:71]
	ds_read2_b64 v[28:31], v187 offset0:98 offset1:233
	s_waitcnt vmcnt(12)
	v_mul_f64 v[24:25], v[154:155], v[66:67]
	v_fmac_f64_e32 v[70:71], v[150:151], v[68:69]
	v_fma_f64 v[68:69], v[26:27], v[64:65], -v[24:25]
	v_mul_f64 v[150:151], v[26:27], v[66:67]
	s_waitcnt vmcnt(11) lgkmcnt(0)
	v_mul_f64 v[24:25], v[28:29], v[74:75]
	v_fmac_f64_e32 v[150:151], v[154:155], v[64:65]
	v_fma_f64 v[64:65], v[20:21], v[72:73], -v[24:25]
	ds_read2_b64 v[24:27], v188 offset0:40 offset1:175
	v_mul_f64 v[74:75], v[20:21], v[74:75]
	v_fmac_f64_e32 v[74:75], v[28:29], v[72:73]
	s_waitcnt vmcnt(10)
	v_mul_f64 v[20:21], v[30:31], v[86:87]
	v_fmac_f64_e32 v[148:149], v[152:153], v[56:57]
	s_waitcnt vmcnt(9) lgkmcnt(0)
	v_mul_f64 v[28:29], v[24:25], v[82:83]
	v_fma_f64 v[62:63], v[22:23], v[84:85], -v[20:21]
	v_mul_f64 v[66:67], v[22:23], v[86:87]
	ds_read2_b64 v[20:23], v189 offset0:112 offset1:247
	v_fma_f64 v[152:153], v[16:17], v[80:81], -v[28:29]
	v_mul_f64 v[156:157], v[16:17], v[82:83]
	s_waitcnt vmcnt(8)
	v_mul_f64 v[16:17], v[26:27], v[78:79]
	v_fmac_f64_e32 v[156:157], v[24:25], v[80:81]
	v_fma_f64 v[80:81], v[18:19], v[76:77], -v[16:17]
	v_mul_f64 v[154:155], v[18:19], v[78:79]
	ds_read2_b64 v[16:19], v190 offset0:54 offset1:189
	s_waitcnt vmcnt(7) lgkmcnt(1)
	v_mul_f64 v[24:25], v[20:21], v[94:95]
	v_fma_f64 v[72:73], v[12:13], v[92:93], -v[24:25]
	v_mul_f64 v[78:79], v[12:13], v[94:95]
	v_fmac_f64_e32 v[66:67], v[30:31], v[84:85]
	s_waitcnt vmcnt(6) lgkmcnt(0)
	v_mul_f64 v[12:13], v[16:17], v[90:91]
	v_fma_f64 v[84:85], v[8:9], v[88:89], -v[12:13]
	v_mul_f64 v[94:95], v[8:9], v[90:91]
	s_waitcnt vmcnt(5)
	v_mul_f64 v[8:9], v[22:23], v[98:99]
	v_fmac_f64_e32 v[154:155], v[26:27], v[76:77]
	v_fma_f64 v[76:77], v[14:15], v[96:97], -v[8:9]
	v_mul_f64 v[86:87], v[14:15], v[98:99]
	ds_read2_b64 v[12:15], v193 offset0:62 offset1:197
	s_waitcnt vmcnt(4)
	v_mul_f64 v[8:9], v[18:19], v[160:161]
	v_fma_f64 v[90:91], v[10:11], v[158:159], -v[8:9]
	v_mul_f64 v[98:99], v[10:11], v[160:161]
	v_fmac_f64_e32 v[78:79], v[20:21], v[92:93]
	s_waitcnt vmcnt(3) lgkmcnt(0)
	v_mul_f64 v[8:9], v[12:13], v[164:165]
	v_fma_f64 v[82:83], v[4:5], v[162:163], -v[8:9]
	ds_read2_b64 v[8:11], v194 offset0:68 offset1:203
	v_mul_f64 v[92:93], v[4:5], v[164:165]
	s_waitcnt vmcnt(2)
	v_mul_f64 v[4:5], v[14:15], v[214:215]
	v_fmac_f64_e32 v[94:95], v[16:17], v[88:89]
	v_fma_f64 v[88:89], v[6:7], v[212:213], -v[4:5]
	s_waitcnt vmcnt(1) lgkmcnt(0)
	v_mul_f64 v[4:5], v[8:9], v[218:219]
	v_fmac_f64_e32 v[98:99], v[18:19], v[158:159]
	v_fmac_f64_e32 v[92:93], v[12:13], v[162:163]
	v_fma_f64 v[158:159], v[0:1], v[216:217], -v[4:5]
	v_mul_f64 v[162:163], v[0:1], v[218:219]
	ds_read_b64 v[58:59], v176
	ds_read_b64 v[42:43], v182
	;; [unrolled: 1-line block ×3, first 2 shown]
	v_fmac_f64_e32 v[162:163], v[8:9], v[216:217]
	v_fmac_f64_e32 v[86:87], v[22:23], v[96:97]
	v_mul_f64 v[96:97], v[6:7], v[214:215]
	s_waitcnt vmcnt(0)
	v_mul_f64 v[0:1], v[10:11], v[46:47]
	v_fma_f64 v[160:161], v[2:3], v[44:45], -v[0:1]
	v_mul_f64 v[164:165], v[2:3], v[46:47]
	v_add_f64 v[2:3], v[166:167], v[168:169]
	v_add_f64 v[0:1], v[122:123], v[166:167]
	v_fmac_f64_e32 v[122:123], -0.5, v[2:3]
	v_add_f64 v[2:3], v[36:37], -v[32:33]
	v_add_f64 v[0:1], v[0:1], v[168:169]
	v_fma_f64 v[4:5], s[2:3], v[2:3], v[122:123]
	v_fmac_f64_e32 v[122:123], s[6:7], v[2:3]
	v_add_f64 v[2:3], v[134:135], v[140:141]
	v_fmac_f64_e32 v[164:165], v[10:11], v[44:45]
	ds_read_b64 v[44:45], v179
	ds_read_b64 v[56:57], v177
	;; [unrolled: 1-line block ×7, first 2 shown]
	s_waitcnt lgkmcnt(0)
	s_barrier
	ds_write2_b64 v176, v[0:1], v[4:5] offset1:150
	v_add_f64 v[0:1], v[120:121], v[134:135]
	v_fmac_f64_e32 v[120:121], -0.5, v[2:3]
	v_mov_b32_e32 v2, 0xe10
	v_cndmask_b32_e64 v2, 0, v2, s[0:1]
	v_lshlrev_b32_e32 v3, 3, v170
	v_add3_u32 v203, 0, v2, v3
	v_add_f64 v[2:3], v[138:139], -v[146:147]
	v_add_f64 v[0:1], v[0:1], v[140:141]
	v_fma_f64 v[4:5], s[2:3], v[2:3], v[120:121]
	v_fmac_f64_e32 v[120:121], s[6:7], v[2:3]
	v_add_f64 v[2:3], v[136:137], v[144:145]
	ds_write_b64 v176, v[122:123] offset:2400
	ds_write2_b64 v203, v[0:1], v[4:5] offset1:150
	v_add_f64 v[0:1], v[118:119], v[136:137]
	v_fmac_f64_e32 v[118:119], -0.5, v[2:3]
	v_mul_u32_u24_e32 v2, 0xe10, v171
	v_lshlrev_b32_e32 v3, 3, v198
	v_add3_u32 v198, 0, v2, v3
	v_add_f64 v[2:3], v[142:143], -v[148:149]
	v_add_f64 v[0:1], v[0:1], v[144:145]
	v_fma_f64 v[4:5], s[2:3], v[2:3], v[118:119]
	ds_write_b64 v203, v[120:121] offset:2400
	ds_write2_b64 v198, v[0:1], v[4:5] offset1:150
	v_add_f64 v[0:1], v[58:59], v[36:37]
	v_add_f64 v[170:171], v[0:1], v[32:33]
	;; [unrolled: 1-line block ×3, first 2 shown]
	v_fmac_f64_e32 v[118:119], s[6:7], v[2:3]
	v_add_f64 v[2:3], v[60:61], v[68:69]
	v_fmac_f64_e32 v[58:59], -0.5, v[0:1]
	v_add_f64 v[0:1], v[116:117], v[60:61]
	v_fmac_f64_e32 v[116:117], -0.5, v[2:3]
	v_add_f64 v[2:3], v[70:71], -v[150:151]
	v_fma_f64 v[4:5], s[2:3], v[2:3], v[116:117]
	v_fmac_f64_e32 v[116:117], s[6:7], v[2:3]
	v_perm_b32 v2, v204, v208, s10
	s_movk_i32 s0, 0xe10
	v_pk_mul_lo_u16 v8, v2, s0 op_sel_hi:[1,0]
	v_lshlrev_b32_e32 v2, 3, v199
	v_lshrrev_b32_e32 v3, 16, v8
	v_add3_u32 v199, 0, v3, v2
	v_add_f64 v[0:1], v[0:1], v[68:69]
	v_add_f64 v[2:3], v[64:65], v[152:153]
	ds_write_b64 v198, v[118:119] offset:2400
	ds_write2_b64 v199, v[0:1], v[4:5] offset1:150
	v_add_f64 v[0:1], v[114:115], v[64:65]
	v_fmac_f64_e32 v[114:115], -0.5, v[2:3]
	v_add_f64 v[2:3], v[74:75], -v[156:157]
	v_add_f64 v[6:7], v[62:63], v[80:81]
	v_fma_f64 v[4:5], s[2:3], v[2:3], v[114:115]
	v_fmac_f64_e32 v[114:115], s[6:7], v[2:3]
	v_add_f64 v[2:3], v[112:113], v[62:63]
	v_fmac_f64_e32 v[112:113], -0.5, v[6:7]
	v_and_b32_e32 v6, 0xfff0, v8
	v_lshlrev_b32_e32 v7, 3, v207
	v_add_f64 v[0:1], v[0:1], v[152:153]
	v_add3_u32 v204, 0, v6, v7
	ds_write_b64 v199, v[116:117] offset:2400
	ds_write2_b64 v204, v[0:1], v[4:5] offset1:150
	v_add_f64 v[0:1], v[66:67], -v[154:155]
	v_add_f64 v[6:7], v[72:73], v[84:85]
	v_fma_f64 v[4:5], s[2:3], v[0:1], v[112:113]
	v_fmac_f64_e32 v[112:113], s[6:7], v[0:1]
	v_add_f64 v[0:1], v[110:111], v[72:73]
	v_fmac_f64_e32 v[110:111], -0.5, v[6:7]
	v_add_f64 v[6:7], v[78:79], -v[94:95]
	v_add_f64 v[10:11], v[76:77], v[90:91]
	v_fma_f64 v[8:9], s[2:3], v[6:7], v[110:111]
	v_fmac_f64_e32 v[110:111], s[6:7], v[6:7]
	v_add_f64 v[6:7], v[108:109], v[76:77]
	v_fmac_f64_e32 v[108:109], -0.5, v[10:11]
	v_perm_b32 v10, v209, v206, s10
	v_fmac_f64_e32 v[96:97], v[14:15], v[212:213]
	v_pk_mul_lo_u16 v14, v10, s0 op_sel_hi:[1,0]
	v_lshlrev_b32_e32 v10, 3, v205
	v_and_b32_e32 v11, 0xfff0, v14
	v_add_f64 v[166:167], v[166:167], -v[168:169]
	v_add3_u32 v205, 0, v11, v10
	v_add_f64 v[2:3], v[2:3], v[80:81]
	ds_write_b64 v204, v[114:115] offset:2400
	ds_write2_b64 v205, v[2:3], v[4:5] offset1:150
	v_add_f64 v[2:3], v[86:87], -v[98:99]
	v_add_f64 v[10:11], v[82:83], v[158:159]
	v_fma_f64 v[168:169], s[6:7], v[166:167], v[58:59]
	v_fmac_f64_e32 v[58:59], s[2:3], v[166:167]
	v_add_f64 v[166:167], v[42:43], v[138:139]
	v_add_f64 v[138:139], v[138:139], v[146:147]
	v_fma_f64 v[4:5], s[2:3], v[2:3], v[108:109]
	v_fmac_f64_e32 v[108:109], s[6:7], v[2:3]
	v_add_f64 v[2:3], v[106:107], v[82:83]
	v_fmac_f64_e32 v[106:107], -0.5, v[10:11]
	v_add_f64 v[10:11], v[92:93], -v[162:163]
	v_fmac_f64_e32 v[42:43], -0.5, v[138:139]
	v_add_f64 v[134:135], v[134:135], -v[140:141]
	v_add_f64 v[140:141], v[142:143], v[148:149]
	v_fma_f64 v[12:13], s[2:3], v[10:11], v[106:107]
	v_fmac_f64_e32 v[106:107], s[6:7], v[10:11]
	v_lshrrev_b32_e32 v10, 16, v14
	v_lshlrev_b32_e32 v11, 3, v201
	v_fma_f64 v[138:139], s[6:7], v[134:135], v[42:43]
	v_fmac_f64_e32 v[42:43], s[2:3], v[134:135]
	v_add_f64 v[134:135], v[40:41], v[142:143]
	v_fmac_f64_e32 v[40:41], -0.5, v[140:141]
	v_add_f64 v[136:137], v[136:137], -v[144:145]
	v_add_f64 v[0:1], v[0:1], v[84:85]
	v_add3_u32 v201, 0, v10, v11
	v_fma_f64 v[140:141], s[6:7], v[136:137], v[40:41]
	v_fmac_f64_e32 v[40:41], s[2:3], v[136:137]
	v_add_f64 v[136:137], v[56:57], v[70:71]
	v_add_f64 v[70:71], v[70:71], v[150:151]
	ds_write_b64 v205, v[112:113] offset:2400
	ds_write2_b64 v201, v[0:1], v[8:9] offset1:150
	v_add_f64 v[8:9], v[88:89], v[160:161]
	v_fmac_f64_e32 v[56:57], -0.5, v[70:71]
	v_add_f64 v[60:61], v[60:61], -v[68:69]
	v_add_f64 v[70:71], v[74:75], v[156:157]
	v_add_f64 v[0:1], v[104:105], v[88:89]
	v_fmac_f64_e32 v[104:105], -0.5, v[8:9]
	v_add_f64 v[8:9], v[96:97], -v[164:165]
	v_fma_f64 v[68:69], s[6:7], v[60:61], v[56:57]
	v_fmac_f64_e32 v[56:57], s[2:3], v[60:61]
	v_add_f64 v[60:61], v[44:45], v[74:75]
	v_fmac_f64_e32 v[44:45], -0.5, v[70:71]
	v_add_f64 v[64:65], v[64:65], -v[152:153]
	v_fma_f64 v[10:11], s[2:3], v[8:9], v[104:105]
	v_fmac_f64_e32 v[104:105], s[6:7], v[8:9]
	v_perm_b32 v8, v210, v197, s10
	v_fma_f64 v[70:71], s[6:7], v[64:65], v[44:45]
	v_fmac_f64_e32 v[44:45], s[2:3], v[64:65]
	v_add_f64 v[64:65], v[54:55], v[66:67]
	v_add_f64 v[66:67], v[66:67], v[154:155]
	v_pk_mul_lo_u16 v8, v8, s0 op_sel_hi:[1,0]
	v_fmac_f64_e32 v[54:55], -0.5, v[66:67]
	v_add_f64 v[62:63], v[62:63], -v[80:81]
	v_add_f64 v[74:75], v[78:79], v[94:95]
	v_and_b32_e32 v9, 0xfff0, v8
	v_lshlrev_b32_e32 v14, 3, v196
	v_fma_f64 v[66:67], s[6:7], v[62:63], v[54:55]
	v_fmac_f64_e32 v[54:55], s[2:3], v[62:63]
	v_add_f64 v[62:63], v[50:51], v[78:79]
	v_fmac_f64_e32 v[50:51], -0.5, v[74:75]
	v_add_f64 v[72:73], v[72:73], -v[84:85]
	v_add_f64 v[78:79], v[86:87], v[98:99]
	v_add_f64 v[6:7], v[6:7], v[90:91]
	v_add3_u32 v196, 0, v9, v14
	v_fma_f64 v[74:75], s[6:7], v[72:73], v[50:51]
	v_fmac_f64_e32 v[50:51], s[2:3], v[72:73]
	v_add_f64 v[72:73], v[52:53], v[86:87]
	v_fmac_f64_e32 v[52:53], -0.5, v[78:79]
	v_add_f64 v[76:77], v[76:77], -v[90:91]
	v_add_f64 v[80:81], v[92:93], v[162:163]
	ds_write_b64 v201, v[110:111] offset:2400
	ds_write2_b64 v196, v[6:7], v[4:5] offset1:150
	ds_write_b64 v196, v[108:109] offset:2400
	v_lshrrev_b32_e32 v4, 16, v8
	v_lshlrev_b32_e32 v5, 3, v200
	v_lshl_add_u32 v200, v202, 3, 0
	v_fma_f64 v[78:79], s[6:7], v[76:77], v[52:53]
	v_fmac_f64_e32 v[52:53], s[2:3], v[76:77]
	v_add_f64 v[76:77], v[48:49], v[92:93]
	v_fmac_f64_e32 v[48:49], -0.5, v[80:81]
	v_add_f64 v[80:81], v[82:83], -v[158:159]
	v_add_f64 v[84:85], v[96:97], v[164:165]
	v_add_f64 v[2:3], v[2:3], v[158:159]
	;; [unrolled: 1-line block ×3, first 2 shown]
	v_add3_u32 v197, 0, v4, v5
	v_add_u32_e32 v202, 0x7000, v200
	v_fma_f64 v[82:83], s[6:7], v[80:81], v[48:49]
	v_fmac_f64_e32 v[48:49], s[2:3], v[80:81]
	v_add_f64 v[80:81], v[46:47], v[96:97]
	v_fmac_f64_e32 v[46:47], -0.5, v[84:85]
	v_add_f64 v[84:85], v[88:89], -v[160:161]
	ds_write2_b64 v197, v[2:3], v[12:13] offset1:150
	ds_write_b64 v197, v[106:107] offset:2400
	ds_write2_b64 v202, v[0:1], v[10:11] offset0:16 offset1:166
	ds_write_b64 v200, v[104:105] offset:31200
	s_waitcnt lgkmcnt(0)
	s_barrier
	ds_read_b64 v[120:121], v176
	ds_read2_b64 v[24:27], v183 offset0:70 offset1:205
	ds_read_b64 v[122:123], v182
	ds_read_b64 v[118:119], v181
	;; [unrolled: 1-line block ×9, first 2 shown]
	ds_read2_b64 v[36:39], v184 offset0:12 offset1:147
	ds_read2_b64 v[32:35], v185 offset0:84 offset1:219
	;; [unrolled: 1-line block ×9, first 2 shown]
	s_waitcnt lgkmcnt(0)
	s_barrier
	ds_write2_b64 v176, v[170:171], v[168:169] offset1:150
	v_add_f64 v[166:167], v[166:167], v[146:147]
	v_add_f64 v[134:135], v[134:135], v[148:149]
	;; [unrolled: 1-line block ×9, first 2 shown]
	v_fma_f64 v[86:87], s[6:7], v[84:85], v[46:47]
	v_fmac_f64_e32 v[46:47], s[2:3], v[84:85]
	ds_write_b64 v176, v[58:59] offset:2400
	ds_write2_b64 v203, v[166:167], v[138:139] offset1:150
	ds_write_b64 v203, v[42:43] offset:2400
	ds_write2_b64 v198, v[134:135], v[140:141] offset1:150
	;; [unrolled: 2-line block ×8, first 2 shown]
	ds_write_b64 v197, v[48:49] offset:2400
	ds_write2_b64 v202, v[80:81], v[86:87] offset0:16 offset1:166
	ds_write_b64 v200, v[46:47] offset:31200
	v_add_co_u32_e64 v40, s[0:1], s12, v100
	s_mov_b64 s[10:11], 0x1b80
	s_nop 0
	v_addc_co_u32_e64 v41, s[0:1], 0, v101, s[0:1]
	s_waitcnt lgkmcnt(0)
	s_barrier
	global_load_dwordx4 v[44:47], v[40:41], off offset:2944
	v_lshl_add_u64 v[40:41], v[100:101], 0, s[10:11]
	global_load_dwordx4 v[40:43], v[40:41], off offset:16
	v_lshlrev_b32_e32 v48, 1, v133
	v_mov_b32_e32 v49, v103
	v_lshl_add_u64 v[96:97], v[48:49], 4, s[4:5]
	v_add_co_u32_e64 v56, s[0:1], s12, v96
	ds_read2_b64 v[52:55], v183 offset0:70 offset1:205
	s_nop 0
	v_addc_co_u32_e64 v57, s[0:1], 0, v97, s[0:1]
	v_lshl_add_u64 v[58:59], v[96:97], 0, s[10:11]
	global_load_dwordx4 v[60:63], v[56:57], off offset:2944
	global_load_dwordx4 v[48:51], v[58:59], off offset:16
	v_lshlrev_b32_e32 v64, 1, v132
	v_mov_b32_e32 v65, v103
	v_lshl_add_u64 v[98:99], v[64:65], 4, s[4:5]
	v_add_co_u32_e64 v64, s[0:1], s12, v98
	v_lshl_add_u64 v[66:67], v[98:99], 0, s[10:11]
	s_nop 0
	v_addc_co_u32_e64 v65, s[0:1], 0, v99, s[0:1]
	v_subrev_u32_e32 v72, 45, v172
	v_cmp_gt_u32_e64 s[0:1], 45, v172
	ds_read2_b64 v[56:59], v184 offset0:12 offset1:147
	global_load_dwordx4 v[68:71], v[64:65], off offset:2944
	s_nop 0
	global_load_dwordx4 v[64:67], v[66:67], off offset:16
	v_cndmask_b32_e64 v152, v72, v127, s[0:1]
	v_lshlrev_b32_e32 v72, 1, v152
	v_mov_b32_e32 v73, v103
	v_lshl_add_u64 v[72:73], v[72:73], 4, s[4:5]
	v_add_co_u32_e64 v74, s[0:1], s12, v72
	v_add_u32_e32 v80, 0xb4, v102
	s_nop 0
	v_addc_co_u32_e64 v75, s[0:1], 0, v73, s[0:1]
	v_lshl_add_u64 v[72:73], v[72:73], 0, s[10:11]
	global_load_dwordx4 v[76:79], v[74:75], off offset:2944
	s_nop 0
	global_load_dwordx4 v[72:75], v[72:73], off offset:16
	v_mov_b32_e32 v81, v103
	v_add_u32_e32 v102, 0x1c2, v102
	v_mul_u32_u24_sdwa v153, v129, s14 dst_sel:DWORD dst_unused:UNUSED_PAD src0_sel:WORD_0 src1_sel:DWORD
	v_lshl_add_u64 v[80:81], v[80:81], 4, s[4:5]
	v_lshl_add_u64 v[88:89], v[102:103], 4, s[4:5]
	v_mul_lo_u16_sdwa v102, v153, s13 dst_sel:DWORD dst_unused:UNUSED_PAD src0_sel:BYTE_3 src1_sel:DWORD
	v_lshl_add_u64 v[82:83], v[80:81], 0, s[10:11]
	v_add_co_u32_e64 v80, s[0:1], s12, v80
	v_sub_u16_e32 v154, v129, v102
	s_nop 0
	v_addc_co_u32_e64 v81, s[0:1], 0, v81, s[0:1]
	v_lshlrev_b32_e32 v102, 5, v154
	global_load_dwordx4 v[84:87], v[80:81], off offset:2944
	s_nop 0
	global_load_dwordx4 v[80:83], v[82:83], off offset:16
	v_lshl_add_u64 v[92:93], v[88:89], 0, s[10:11]
	v_add_co_u32_e64 v88, s[0:1], s12, v88
	v_lshl_add_u64 v[136:137], s[4:5], 0, v[102:103]
	v_mul_u32_u24_sdwa v102, v173, s14 dst_sel:DWORD dst_unused:UNUSED_PAD src0_sel:WORD_0 src1_sel:DWORD
	v_addc_co_u32_e64 v89, s[0:1], 0, v89, s[0:1]
	v_mul_lo_u16_sdwa v102, v102, s13 dst_sel:DWORD dst_unused:UNUSED_PAD src0_sel:BYTE_3 src1_sel:DWORD
	global_load_dwordx4 v[88:91], v[88:89], off offset:2944
	s_nop 0
	global_load_dwordx4 v[92:95], v[92:93], off offset:16
	v_sub_u16_e32 v155, v173, v102
	v_add_co_u32_e64 v138, s[0:1], s12, v136
	v_lshlrev_b32_e32 v102, 5, v155
	s_nop 0
	v_addc_co_u32_e64 v139, s[0:1], 0, v137, s[0:1]
	v_lshl_add_u64 v[144:145], s[4:5], 0, v[102:103]
	v_add_co_u32_e64 v146, s[0:1], s12, v144
	v_lshl_add_u64 v[140:141], v[136:137], 0, s[10:11]
	s_nop 0
	v_addc_co_u32_e64 v147, s[0:1], 0, v145, s[0:1]
	global_load_dwordx4 v[136:139], v[138:139], off offset:2944
	s_nop 0
	global_load_dwordx4 v[140:143], v[140:141], off offset:16
	v_lshl_add_u64 v[148:149], v[144:145], 0, s[10:11]
	v_mul_u32_u24_sdwa v102, v130, s14 dst_sel:DWORD dst_unused:UNUSED_PAD src0_sel:WORD_0 src1_sel:DWORD
	global_load_dwordx4 v[144:147], v[146:147], off offset:2944
	s_nop 0
	global_load_dwordx4 v[148:151], v[148:149], off offset:16
	v_mul_lo_u16_sdwa v102, v102, s13 dst_sel:DWORD dst_unused:UNUSED_PAD src0_sel:BYTE_3 src1_sel:DWORD
	v_sub_u16_e32 v156, v130, v102
	v_lshlrev_b32_e32 v102, 5, v156
	v_lshl_add_u64 v[166:167], s[4:5], 0, v[102:103]
	v_add_co_u32_e64 v158, s[0:1], s12, v166
	v_mul_u32_u24_sdwa v102, v131, s14 dst_sel:DWORD dst_unused:UNUSED_PAD src0_sel:WORD_0 src1_sel:DWORD
	s_nop 0
	v_addc_co_u32_e64 v159, s[0:1], 0, v167, s[0:1]
	v_mul_lo_u16_sdwa v102, v102, s13 dst_sel:DWORD dst_unused:UNUSED_PAD src0_sel:BYTE_3 src1_sel:DWORD
	global_load_dwordx4 v[158:161], v[158:159], off offset:2944
	v_sub_u16_e32 v157, v131, v102
	v_lshlrev_b32_e32 v102, 5, v157
	v_lshl_add_u64 v[168:169], s[4:5], 0, v[102:103]
	s_waitcnt vmcnt(16) lgkmcnt(1)
	v_mul_f64 v[134:135], v[52:53], v[46:47]
	v_add_co_u32_e64 v162, s[0:1], s12, v168
	v_fma_f64 v[134:135], v[24:25], v[44:45], -v[134:135]
	s_nop 0
	v_addc_co_u32_e64 v163, s[0:1], 0, v169, s[0:1]
	v_mul_f64 v[170:171], v[24:25], v[46:47]
	s_waitcnt vmcnt(15) lgkmcnt(0)
	v_mul_f64 v[24:25], v[56:57], v[42:43]
	global_load_dwordx4 v[162:165], v[162:163], off offset:2944
	v_fmac_f64_e32 v[170:171], v[52:53], v[44:45]
	v_fma_f64 v[52:53], v[36:37], v[40:41], -v[24:25]
	v_lshl_add_u64 v[24:25], v[166:167], 0, s[10:11]
	global_load_dwordx4 v[44:47], v[24:25], off offset:16
	v_mul_f64 v[166:167], v[36:37], v[42:43]
	v_lshl_add_u64 v[24:25], v[168:169], 0, s[10:11]
	v_fmac_f64_e32 v[166:167], v[56:57], v[40:41]
	global_load_dwordx4 v[40:43], v[24:25], off offset:16
	s_waitcnt vmcnt(17)
	v_mul_f64 v[24:25], v[54:55], v[62:63]
	v_fma_f64 v[56:57], v[26:27], v[60:61], -v[24:25]
	v_mul_f64 v[62:63], v[26:27], v[62:63]
	ds_read2_b64 v[24:27], v185 offset0:84 offset1:219
	s_waitcnt vmcnt(16)
	v_mul_f64 v[36:37], v[58:59], v[50:51]
	v_fmac_f64_e32 v[62:63], v[54:55], v[60:61]
	v_fma_f64 v[54:55], v[38:39], v[48:49], -v[36:37]
	v_mul_f64 v[50:51], v[38:39], v[50:51]
	s_waitcnt vmcnt(15) lgkmcnt(0)
	v_mul_f64 v[36:37], v[24:25], v[70:71]
	v_fmac_f64_e32 v[50:51], v[58:59], v[48:49]
	v_fma_f64 v[48:49], v[32:33], v[68:69], -v[36:37]
	ds_read2_b64 v[36:39], v186 offset0:26 offset1:161
	v_mul_f64 v[60:61], v[32:33], v[70:71]
	v_fmac_f64_e32 v[60:61], v[24:25], v[68:69]
	s_waitcnt vmcnt(13)
	v_mul_f64 v[24:25], v[26:27], v[78:79]
	v_fma_f64 v[168:169], v[34:35], v[76:77], -v[24:25]
	v_mul_f64 v[78:79], v[34:35], v[78:79]
	s_waitcnt lgkmcnt(0)
	v_mul_f64 v[24:25], v[36:37], v[66:67]
	v_fmac_f64_e32 v[78:79], v[26:27], v[76:77]
	v_fma_f64 v[76:77], v[28:29], v[64:65], -v[24:25]
	ds_read2_b64 v[24:27], v187 offset0:98 offset1:233
	v_mul_f64 v[66:67], v[28:29], v[66:67]
	s_waitcnt vmcnt(12)
	v_mul_f64 v[28:29], v[38:39], v[74:75]
	v_fmac_f64_e32 v[66:67], v[36:37], v[64:65]
	v_fma_f64 v[36:37], v[30:31], v[72:73], -v[28:29]
	v_mul_f64 v[64:65], v[30:31], v[74:75]
	ds_read2_b64 v[28:31], v188 offset0:40 offset1:175
	s_waitcnt vmcnt(11) lgkmcnt(1)
	v_mul_f64 v[32:33], v[24:25], v[86:87]
	v_fmac_f64_e32 v[64:65], v[38:39], v[72:73]
	v_fma_f64 v[38:39], v[20:21], v[84:85], -v[32:33]
	ds_read2_b64 v[32:35], v189 offset0:112 offset1:247
	v_mul_f64 v[86:87], v[20:21], v[86:87]
	s_waitcnt vmcnt(9)
	v_mul_f64 v[20:21], v[26:27], v[90:91]
	v_fma_f64 v[196:197], v[22:23], v[88:89], -v[20:21]
	v_mul_f64 v[198:199], v[22:23], v[90:91]
	ds_read2_b64 v[20:23], v190 offset0:54 offset1:189
	v_fmac_f64_e32 v[86:87], v[24:25], v[84:85]
	s_waitcnt lgkmcnt(2)
	v_mul_f64 v[24:25], v[28:29], v[82:83]
	v_fma_f64 v[84:85], v[16:17], v[80:81], -v[24:25]
	s_waitcnt vmcnt(8)
	v_mul_f64 v[24:25], v[30:31], v[94:95]
	v_fmac_f64_e32 v[198:199], v[26:27], v[88:89]
	v_fma_f64 v[88:89], v[18:19], v[92:93], -v[24:25]
	v_mul_f64 v[18:19], v[18:19], v[94:95]
	v_fmac_f64_e32 v[18:19], v[30:31], v[92:93]
	s_waitcnt vmcnt(7) lgkmcnt(1)
	v_mul_f64 v[24:25], v[32:33], v[138:139]
	v_fma_f64 v[92:93], v[12:13], v[136:137], -v[24:25]
	v_mul_f64 v[94:95], v[12:13], v[138:139]
	s_waitcnt vmcnt(5)
	v_mul_f64 v[12:13], v[34:35], v[146:147]
	v_fma_f64 v[200:201], v[14:15], v[144:145], -v[12:13]
	s_waitcnt lgkmcnt(0)
	v_mul_f64 v[12:13], v[20:21], v[142:143]
	v_mul_f64 v[146:147], v[14:15], v[146:147]
	v_fma_f64 v[138:139], v[8:9], v[140:141], -v[12:13]
	ds_read2_b64 v[12:15], v193 offset0:62 offset1:197
	v_mul_f64 v[142:143], v[8:9], v[142:143]
	s_waitcnt vmcnt(4)
	v_mul_f64 v[8:9], v[22:23], v[150:151]
	v_fmac_f64_e32 v[146:147], v[34:35], v[144:145]
	v_fmac_f64_e32 v[142:143], v[20:21], v[140:141]
	v_fma_f64 v[20:21], v[10:11], v[148:149], -v[8:9]
	v_mul_f64 v[144:145], v[10:11], v[150:151]
	s_waitcnt vmcnt(3) lgkmcnt(0)
	v_mul_f64 v[8:9], v[12:13], v[160:161]
	v_fmac_f64_e32 v[144:145], v[22:23], v[148:149]
	v_fma_f64 v[22:23], v[4:5], v[158:159], -v[8:9]
	ds_read2_b64 v[8:11], v194 offset0:68 offset1:203
	v_fmac_f64_e32 v[94:95], v[32:33], v[136:137]
	v_mul_f64 v[148:149], v[4:5], v[160:161]
	ds_read_b64 v[32:33], v176
	v_fmac_f64_e32 v[148:149], v[12:13], v[158:159]
	ds_read_b64 v[34:35], v182
	ds_read_b64 v[24:25], v181
	v_mul_f64 v[16:17], v[16:17], v[82:83]
	v_fmac_f64_e32 v[16:17], v[28:29], v[80:81]
	ds_read_b64 v[28:29], v179
	ds_read_b64 v[30:31], v177
	;; [unrolled: 1-line block ×3, first 2 shown]
	s_waitcnt vmcnt(2)
	v_mul_f64 v[4:5], v[14:15], v[164:165]
	v_fma_f64 v[12:13], v[6:7], v[162:163], -v[4:5]
	v_mul_f64 v[150:151], v[6:7], v[164:165]
	v_fmac_f64_e32 v[150:151], v[14:15], v[162:163]
	s_waitcnt vmcnt(1) lgkmcnt(6)
	v_mul_f64 v[4:5], v[8:9], v[46:47]
	v_fma_f64 v[14:15], v[0:1], v[44:45], -v[4:5]
	v_mul_f64 v[158:159], v[0:1], v[46:47]
	v_fmac_f64_e32 v[158:159], v[8:9], v[44:45]
	s_waitcnt vmcnt(0)
	v_mul_f64 v[0:1], v[10:11], v[42:43]
	v_fma_f64 v[44:45], v[2:3], v[40:41], -v[0:1]
	v_mul_f64 v[42:43], v[2:3], v[42:43]
	v_add_f64 v[2:3], v[134:135], v[52:53]
	v_add_f64 v[0:1], v[120:121], v[134:135]
	v_fmac_f64_e32 v[120:121], -0.5, v[2:3]
	v_add_f64 v[4:5], v[170:171], -v[166:167]
	v_fma_f64 v[2:3], s[2:3], v[4:5], v[120:121]
	v_fmac_f64_e32 v[120:121], s[6:7], v[4:5]
	s_waitcnt lgkmcnt(5)
	v_add_f64 v[4:5], v[32:33], v[170:171]
	v_add_f64 v[58:59], v[4:5], v[166:167]
	;; [unrolled: 1-line block ×3, first 2 shown]
	v_fmac_f64_e32 v[32:33], -0.5, v[4:5]
	v_add_f64 v[4:5], v[134:135], -v[52:53]
	v_add_f64 v[6:7], v[56:57], v[54:55]
	v_fma_f64 v[68:69], s[6:7], v[4:5], v[32:33]
	v_fmac_f64_e32 v[32:33], s[2:3], v[4:5]
	v_add_f64 v[4:5], v[122:123], v[56:57]
	v_fmac_f64_e32 v[122:123], -0.5, v[6:7]
	v_add_f64 v[8:9], v[62:63], -v[50:51]
	v_fma_f64 v[6:7], s[2:3], v[8:9], v[122:123]
	v_fmac_f64_e32 v[122:123], s[6:7], v[8:9]
	s_waitcnt lgkmcnt(4)
	v_add_f64 v[8:9], v[34:35], v[62:63]
	v_add_f64 v[70:71], v[8:9], v[50:51]
	;; [unrolled: 1-line block ×3, first 2 shown]
	v_fmac_f64_e32 v[42:43], v[10:11], v[40:41]
	v_fmac_f64_e32 v[34:35], -0.5, v[8:9]
	v_add_f64 v[8:9], v[56:57], -v[54:55]
	v_add_f64 v[10:11], v[48:49], v[76:77]
	v_fma_f64 v[72:73], s[6:7], v[8:9], v[34:35]
	v_fmac_f64_e32 v[34:35], s[2:3], v[8:9]
	v_add_f64 v[8:9], v[118:119], v[48:49]
	v_fmac_f64_e32 v[118:119], -0.5, v[10:11]
	v_add_f64 v[40:41], v[60:61], -v[66:67]
	v_fma_f64 v[10:11], s[2:3], v[40:41], v[118:119]
	v_fmac_f64_e32 v[118:119], s[6:7], v[40:41]
	s_waitcnt lgkmcnt(3)
	v_add_f64 v[40:41], v[24:25], v[60:61]
	v_add_f64 v[46:47], v[40:41], v[66:67]
	;; [unrolled: 1-line block ×3, first 2 shown]
	v_fmac_f64_e32 v[24:25], -0.5, v[40:41]
	v_add_f64 v[40:41], v[48:49], -v[76:77]
	v_add_f64 v[50:51], v[168:169], v[36:37]
	v_fma_f64 v[48:49], s[6:7], v[40:41], v[24:25]
	v_fmac_f64_e32 v[24:25], s[2:3], v[40:41]
	v_add_f64 v[40:41], v[116:117], v[168:169]
	v_fmac_f64_e32 v[116:117], -0.5, v[50:51]
	v_add_f64 v[50:51], v[78:79], -v[64:65]
	v_fma_f64 v[56:57], s[2:3], v[50:51], v[116:117]
	v_fmac_f64_e32 v[116:117], s[6:7], v[50:51]
	s_waitcnt lgkmcnt(1)
	v_add_f64 v[50:51], v[30:31], v[78:79]
	v_add_f64 v[0:1], v[0:1], v[52:53]
	;; [unrolled: 1-line block ×5, first 2 shown]
	v_fmac_f64_e32 v[30:31], -0.5, v[50:51]
	v_add_f64 v[36:37], v[168:169], -v[36:37]
	v_add_f64 v[50:51], v[38:39], v[84:85]
	v_add_f64 v[4:5], v[4:5], v[54:55]
	v_fma_f64 v[54:55], s[6:7], v[36:37], v[30:31]
	v_fmac_f64_e32 v[30:31], s[2:3], v[36:37]
	v_add_f64 v[36:37], v[112:113], v[38:39]
	v_fmac_f64_e32 v[112:113], -0.5, v[50:51]
	v_add_f64 v[50:51], v[86:87], -v[16:17]
	v_fma_f64 v[60:61], s[2:3], v[50:51], v[112:113]
	v_fmac_f64_e32 v[112:113], s[6:7], v[50:51]
	v_add_f64 v[50:51], v[28:29], v[86:87]
	v_add_f64 v[74:75], v[50:51], v[16:17]
	;; [unrolled: 1-line block ×3, first 2 shown]
	ds_read_b64 v[86:87], v180
	v_fmac_f64_e32 v[28:29], -0.5, v[16:17]
	v_add_f64 v[16:17], v[38:39], -v[84:85]
	v_add_f64 v[38:39], v[196:197], v[88:89]
	v_fma_f64 v[78:79], s[6:7], v[16:17], v[28:29]
	v_fmac_f64_e32 v[28:29], s[2:3], v[16:17]
	v_add_f64 v[16:17], v[114:115], v[196:197]
	v_fmac_f64_e32 v[114:115], -0.5, v[38:39]
	v_add_f64 v[38:39], v[198:199], -v[18:19]
	v_fma_f64 v[50:51], s[2:3], v[38:39], v[114:115]
	v_fmac_f64_e32 v[114:115], s[6:7], v[38:39]
	s_waitcnt lgkmcnt(0)
	v_add_f64 v[38:39], v[86:87], v[198:199]
	v_add_f64 v[90:91], v[38:39], v[18:19]
	;; [unrolled: 1-line block ×3, first 2 shown]
	v_fmac_f64_e32 v[86:87], -0.5, v[18:19]
	v_add_f64 v[18:19], v[196:197], -v[88:89]
	v_add_f64 v[38:39], v[92:93], v[138:139]
	v_fma_f64 v[134:135], s[6:7], v[18:19], v[86:87]
	v_fmac_f64_e32 v[86:87], s[2:3], v[18:19]
	v_add_f64 v[18:19], v[110:111], v[92:93]
	v_fmac_f64_e32 v[110:111], -0.5, v[38:39]
	v_add_f64 v[38:39], v[94:95], -v[142:143]
	v_fma_f64 v[62:63], s[2:3], v[38:39], v[110:111]
	v_fmac_f64_e32 v[110:111], s[6:7], v[38:39]
	v_add_f64 v[38:39], v[26:27], v[94:95]
	v_add_f64 v[36:37], v[36:37], v[84:85]
	ds_read_b64 v[84:85], v191
	ds_read_b64 v[82:83], v192
	ds_read_b64 v[80:81], v195
	v_add_f64 v[136:137], v[38:39], v[142:143]
	v_add_f64 v[38:39], v[94:95], v[142:143]
	v_fmac_f64_e32 v[26:27], -0.5, v[38:39]
	v_add_f64 v[38:39], v[92:93], -v[138:139]
	v_add_f64 v[64:65], v[200:201], v[20:21]
	v_add_f64 v[18:19], v[18:19], v[138:139]
	v_fma_f64 v[138:139], s[6:7], v[38:39], v[26:27]
	v_fmac_f64_e32 v[26:27], s[2:3], v[38:39]
	v_add_f64 v[38:39], v[108:109], v[200:201]
	v_fmac_f64_e32 v[108:109], -0.5, v[64:65]
	v_add_f64 v[64:65], v[146:147], -v[144:145]
	v_fma_f64 v[66:67], s[2:3], v[64:65], v[108:109]
	v_fmac_f64_e32 v[108:109], s[6:7], v[64:65]
	s_waitcnt lgkmcnt(2)
	v_add_f64 v[64:65], v[84:85], v[146:147]
	v_add_f64 v[140:141], v[64:65], v[144:145]
	;; [unrolled: 1-line block ×3, first 2 shown]
	v_fmac_f64_e32 v[84:85], -0.5, v[64:65]
	v_add_f64 v[38:39], v[38:39], v[20:21]
	v_add_f64 v[20:21], v[200:201], -v[20:21]
	v_add_f64 v[64:65], v[22:23], v[14:15]
	v_fma_f64 v[142:143], s[6:7], v[20:21], v[84:85]
	v_fmac_f64_e32 v[84:85], s[2:3], v[20:21]
	v_add_f64 v[20:21], v[106:107], v[22:23]
	v_fmac_f64_e32 v[106:107], -0.5, v[64:65]
	v_add_f64 v[64:65], v[148:149], -v[158:159]
	v_add_f64 v[8:9], v[8:9], v[76:77]
	v_fma_f64 v[76:77], s[2:3], v[64:65], v[106:107]
	v_fmac_f64_e32 v[106:107], s[6:7], v[64:65]
	s_waitcnt lgkmcnt(1)
	v_add_f64 v[64:65], v[82:83], v[148:149]
	v_add_f64 v[144:145], v[64:65], v[158:159]
	;; [unrolled: 1-line block ×3, first 2 shown]
	s_waitcnt lgkmcnt(0)
	s_barrier
	ds_write_b64 v176, v[0:1]
	ds_write_b64 v176, v[2:3] offset:3600
	ds_write_b64 v176, v[120:121] offset:7200
	ds_write_b64 v182, v[4:5]
	ds_write_b64 v182, v[6:7] offset:3600
	ds_write_b64 v182, v[122:123] offset:7200
	;; [unrolled: 3-line block ×3, first 2 shown]
	v_mov_b32_e32 v0, 0x2a30
	v_cmp_lt_u32_e64 s[0:1], 44, v172
	v_fmac_f64_e32 v[82:83], -0.5, v[64:65]
	v_add_f64 v[20:21], v[20:21], v[14:15]
	v_add_f64 v[14:15], v[22:23], -v[14:15]
	v_add_f64 v[22:23], v[12:13], v[44:45]
	v_cndmask_b32_e64 v0, 0, v0, s[0:1]
	v_lshlrev_b32_e32 v1, 3, v152
	v_fma_f64 v[146:147], s[6:7], v[14:15], v[82:83]
	v_fmac_f64_e32 v[82:83], s[2:3], v[14:15]
	v_add_f64 v[14:15], v[104:105], v[12:13]
	v_fmac_f64_e32 v[104:105], -0.5, v[22:23]
	v_add_f64 v[22:23], v[150:151], -v[42:43]
	s_movk_i32 s10, 0x2a30
	v_add3_u32 v102, 0, v0, v1
	v_lshl_add_u32 v0, v172, 3, 0
	v_fma_f64 v[64:65], s[2:3], v[22:23], v[104:105]
	v_fmac_f64_e32 v[104:105], s[6:7], v[22:23]
	v_add_f64 v[22:23], v[80:81], v[150:151]
	ds_write_b64 v102, v[40:41]
	ds_write_b64 v102, v[56:57] offset:3600
	ds_write_b64 v102, v[116:117] offset:7200
	v_add_u32_e32 v116, 0x2c00, v0
	v_add_u32_e32 v117, 0x3800, v0
	;; [unrolled: 1-line block ×3, first 2 shown]
	v_mul_u32_u24_sdwa v0, v153, s10 dst_sel:DWORD dst_unused:UNUSED_PAD src0_sel:BYTE_3 src1_sel:DWORD
	v_lshlrev_b32_e32 v1, 3, v154
	v_add_f64 v[16:17], v[16:17], v[88:89]
	v_add_f64 v[148:149], v[22:23], v[42:43]
	;; [unrolled: 1-line block ×3, first 2 shown]
	ds_write2_b64 v118, v[112:113], v[114:115] offset0:36 offset1:171
	v_add3_u32 v112, 0, v0, v1
	v_fmac_f64_e32 v[80:81], -0.5, v[22:23]
	v_add_f64 v[14:15], v[14:15], v[44:45]
	v_add_f64 v[12:13], v[12:13], -v[44:45]
	ds_write2_b64 v116, v[36:37], v[16:17] offset0:32 offset1:167
	ds_write2_b64 v117, v[60:61], v[50:51] offset0:98 offset1:233
	ds_write_b64 v112, v[18:19]
	ds_write_b64 v112, v[62:63] offset:3600
	ds_write_b64 v112, v[110:111] offset:7200
	v_lshl_add_u32 v110, v155, 3, 0
	v_lshl_add_u32 v111, v156, 3, 0
	v_lshl_add_u32 v113, v157, 3, 0
	v_fma_f64 v[150:151], s[6:7], v[12:13], v[80:81]
	v_fmac_f64_e32 v[80:81], s[2:3], v[12:13]
	ds_write_b64 v110, v[38:39] offset:21600
	ds_write_b64 v110, v[66:67] offset:25200
	;; [unrolled: 1-line block ×9, first 2 shown]
	s_waitcnt lgkmcnt(0)
	s_barrier
	ds_read_b64 v[92:93], v176
	ds_read2_b64 v[4:7], v183 offset0:70 offset1:205
	ds_read2_b64 v[0:3], v184 offset0:12 offset1:147
	ds_read_b64 v[94:95], v182
	ds_read_b64 v[104:105], v181
	ds_read2_b64 v[12:15], v185 offset0:84 offset1:219
	ds_read2_b64 v[8:11], v186 offset0:26 offset1:161
	;; [unrolled: 1-line block ×4, first 2 shown]
	ds_read_b64 v[108:109], v179
	ds_read_b64 v[106:107], v177
	;; [unrolled: 1-line block ×3, first 2 shown]
	ds_read2_b64 v[64:67], v189 offset0:112 offset1:247
	ds_read2_b64 v[60:63], v190 offset0:54 offset1:189
	;; [unrolled: 1-line block ×3, first 2 shown]
	ds_read_b64 v[88:89], v180
	ds_read_b64 v[56:57], v191
	;; [unrolled: 1-line block ×4, first 2 shown]
	ds_read2_b64 v[20:23], v194 offset0:68 offset1:203
	s_movk_i32 s10, 0x5000
	s_waitcnt lgkmcnt(0)
	s_barrier
	ds_write_b64 v176, v[58:59]
	ds_write_b64 v176, v[68:69] offset:3600
	ds_write_b64 v176, v[32:33] offset:7200
	ds_write_b64 v182, v[70:71]
	ds_write_b64 v182, v[72:73] offset:3600
	ds_write_b64 v182, v[34:35] offset:7200
	;; [unrolled: 3-line block ×4, first 2 shown]
	ds_write2_b64 v116, v[74:75], v[90:91] offset0:32 offset1:167
	ds_write2_b64 v117, v[78:79], v[134:135] offset0:98 offset1:233
	;; [unrolled: 1-line block ×3, first 2 shown]
	ds_write_b64 v112, v[136:137]
	ds_write_b64 v112, v[138:139] offset:3600
	ds_write_b64 v112, v[26:27] offset:7200
	;; [unrolled: 1-line block ×11, first 2 shown]
	s_waitcnt lgkmcnt(0)
	s_barrier
	s_and_saveexec_b64 s[0:1], vcc
	s_cbranch_execz .LBB0_15
; %bb.14:
	v_lshlrev_b32_e32 v102, 1, v131
	v_lshl_add_u64 v[24:25], v[102:103], 4, s[4:5]
	s_mov_b64 s[0:1], 0x53c0
	v_add_co_u32_e32 v34, vcc, 0x5000, v24
	v_lshl_add_u64 v[32:33], v[24:25], 0, s[0:1]
	s_nop 0
	v_addc_co_u32_e32 v35, vcc, 0, v25, vcc
	v_lshlrev_b32_e32 v102, 1, v130
	global_load_dwordx4 v[24:27], v[34:35], off offset:960
	global_load_dwordx4 v[28:31], v[32:33], off offset:16
	v_lshl_add_u64 v[32:33], v[102:103], 4, s[4:5]
	v_add_co_u32_e32 v54, vcc, s10, v32
	v_lshl_add_u64 v[52:53], v[32:33], 0, s[0:1]
	s_nop 0
	v_addc_co_u32_e32 v55, vcc, 0, v33, vcc
	global_load_dwordx4 v[32:35], v[54:55], off offset:960
	global_load_dwordx4 v[46:49], v[52:53], off offset:16
	v_lshlrev_b32_e32 v102, 1, v173
	v_lshl_add_u64 v[58:59], v[102:103], 4, s[4:5]
	v_add_co_u32_e32 v52, vcc, s10, v58
	v_lshlrev_b32_e32 v102, 1, v129
	s_nop 0
	v_addc_co_u32_e32 v53, vcc, 0, v59, vcc
	global_load_dwordx4 v[52:55], v[52:53], off offset:960
	v_lshl_add_u64 v[58:59], v[58:59], 0, s[0:1]
	global_load_dwordx4 v[78:81], v[58:59], off offset:16
	v_lshl_add_u64 v[86:87], v[102:103], 4, s[4:5]
	v_lshl_add_u64 v[90:91], v[86:87], 0, s[0:1]
	v_add_co_u32_e32 v86, vcc, s10, v86
	v_mul_i32_i24_e32 v130, 0xffffffb8, v133
	s_nop 0
	v_addc_co_u32_e32 v87, vcc, 0, v87, vcc
	v_mul_i32_i24_e32 v131, 0xffffffb8, v132
	ds_read2_b64 v[68:71], v193 offset0:62 offset1:197
	ds_read2_b64 v[72:75], v194 offset0:68 offset1:203
	ds_read_b64 v[58:59], v195
	ds_read_b64 v[82:83], v192
	;; [unrolled: 1-line block ×3, first 2 shown]
	global_load_dwordx4 v[116:119], v[86:87], off offset:960
	global_load_dwordx4 v[132:135], v[90:91], off offset:16
	v_lshlrev_b32_e32 v102, 1, v128
	v_lshl_add_u64 v[110:111], v[102:103], 4, s[4:5]
	v_lshlrev_b32_e32 v102, 1, v126
	v_add_u32_e32 v130, v174, v130
	s_waitcnt vmcnt(7) lgkmcnt(4)
	v_mul_f64 v[86:87], v[26:27], v[70:71]
	s_waitcnt vmcnt(6) lgkmcnt(3)
	v_mul_f64 v[90:91], v[30:31], v[74:75]
	v_mul_f64 v[70:71], v[24:25], v[70:71]
	;; [unrolled: 1-line block ×3, first 2 shown]
	v_fma_f64 v[24:25], v[18:19], v[24:25], -v[86:87]
	v_fma_f64 v[28:29], v[22:23], v[28:29], -v[90:91]
	v_fmac_f64_e32 v[74:75], v[22:23], v[30:31]
	s_waitcnt vmcnt(5)
	v_mul_f64 v[112:113], v[34:35], v[68:69]
	v_mul_f64 v[120:121], v[32:33], v[68:69]
	v_fma_f64 v[86:87], v[16:17], v[32:33], -v[112:113]
	v_fmac_f64_e32 v[120:121], v[16:17], v[34:35]
	v_add_f64 v[16:17], v[24:25], -v[28:29]
	v_add_f64 v[30:31], v[24:25], v[28:29]
	v_add_f64 v[24:25], v[50:51], v[24:25]
	;; [unrolled: 1-line block ×3, first 2 shown]
	v_add_co_u32_e32 v28, vcc, s10, v110
	s_waitcnt vmcnt(4)
	v_mul_f64 v[114:115], v[48:49], v[72:73]
	v_mul_f64 v[122:123], v[46:47], v[72:73]
	v_fmac_f64_e32 v[70:71], v[18:19], v[26:27]
	v_addc_co_u32_e32 v29, vcc, 0, v111, vcc
	v_fma_f64 v[90:91], v[20:21], v[46:47], -v[114:115]
	v_fmac_f64_e32 v[122:123], v[20:21], v[48:49]
	v_add_f64 v[18:19], v[70:71], v[74:75]
	s_waitcnt lgkmcnt(2)
	v_add_f64 v[20:21], v[70:71], v[58:59]
	v_add_f64 v[32:33], v[70:71], -v[74:75]
	global_load_dwordx4 v[68:71], v[28:29], off offset:960
	v_lshl_add_u64 v[28:29], v[110:111], 0, s[0:1]
	v_add_f64 v[26:27], v[74:75], v[20:21]
	global_load_dwordx4 v[72:75], v[28:29], off offset:16
	v_add_f64 v[112:113], v[86:87], v[90:91]
	v_fma_f64 v[22:23], -0.5, v[18:19], v[58:59]
	v_fma_f64 v[20:21], -0.5, v[30:31], v[50:51]
	v_add_f64 v[34:35], v[120:121], v[122:123]
	v_fma_f64 v[18:19], s[2:3], v[16:17], v[22:23]
	v_fmac_f64_e32 v[22:23], s[6:7], v[16:17]
	v_fma_f64 v[16:17], s[6:7], v[32:33], v[20:21]
	v_fmac_f64_e32 v[20:21], s[2:3], v[32:33]
	v_fma_f64 v[32:33], -0.5, v[112:113], v[44:45]
	ds_read2_b64 v[110:113], v189 offset0:112 offset1:247
	v_add_f64 v[48:49], v[86:87], -v[90:91]
	s_waitcnt lgkmcnt(2)
	v_add_f64 v[46:47], v[120:121], v[82:83]
	v_fma_f64 v[34:35], -0.5, v[34:35], v[82:83]
	v_add_f64 v[46:47], v[122:123], v[46:47]
	v_fma_f64 v[30:31], s[2:3], v[48:49], v[34:35]
	v_fmac_f64_e32 v[34:35], s[6:7], v[48:49]
	v_add_f64 v[48:49], v[120:121], -v[122:123]
	ds_read2_b64 v[120:123], v190 offset0:54 offset1:189
	v_fma_f64 v[28:29], s[6:7], v[48:49], v[32:33]
	v_fmac_f64_e32 v[32:33], s[2:3], v[48:49]
	s_waitcnt vmcnt(5) lgkmcnt(1)
	v_mul_f64 v[48:49], v[54:55], v[112:113]
	v_fma_f64 v[114:115], v[66:67], v[52:53], -v[48:49]
	v_mul_f64 v[52:53], v[52:53], v[112:113]
	s_waitcnt vmcnt(4) lgkmcnt(0)
	v_mul_f64 v[48:49], v[80:81], v[122:123]
	v_fmac_f64_e32 v[52:53], v[66:67], v[54:55]
	v_mul_f64 v[66:67], v[78:79], v[122:123]
	v_fma_f64 v[128:129], v[62:63], v[78:79], -v[48:49]
	v_fmac_f64_e32 v[66:67], v[62:63], v[80:81]
	v_lshl_add_u64 v[62:63], v[102:103], 4, s[4:5]
	v_add_co_u32_e32 v54, vcc, s10, v62
	v_add_f64 v[50:51], v[52:53], v[66:67]
	s_nop 0
	v_addc_co_u32_e32 v55, vcc, 0, v63, vcc
	global_load_dwordx4 v[80:83], v[54:55], off offset:960
	v_add_f64 v[48:49], v[114:115], -v[128:129]
	v_fma_f64 v[50:51], -0.5, v[50:51], v[84:85]
	v_fma_f64 v[54:55], s[2:3], v[48:49], v[50:51]
	v_fmac_f64_e32 v[50:51], s[6:7], v[48:49]
	v_add_f64 v[48:49], v[52:53], v[84:85]
	v_add_f64 v[58:59], v[66:67], v[48:49]
	v_add_f64 v[66:67], v[52:53], -v[66:67]
	v_lshl_add_u64 v[52:53], v[62:63], 0, s[0:1]
	v_add_f64 v[44:45], v[44:45], v[86:87]
	global_load_dwordx4 v[84:87], v[52:53], off offset:16
	v_add_f64 v[44:45], v[44:45], v[90:91]
	ds_read_b64 v[90:91], v180
	ds_read_b64 v[122:123], v178
	s_waitcnt vmcnt(5)
	v_mul_f64 v[62:63], v[118:119], v[110:111]
	v_fma_f64 v[112:113], v[64:65], v[116:117], -v[62:63]
	v_mul_f64 v[116:117], v[116:117], v[110:111]
	v_fmac_f64_e32 v[116:117], v[64:65], v[118:119]
	s_waitcnt vmcnt(4)
	v_mul_f64 v[118:119], v[132:133], v[120:121]
	v_add_f64 v[48:49], v[114:115], v[128:129]
	v_mul_f64 v[62:63], v[134:135], v[120:121]
	v_fmac_f64_e32 v[118:119], v[60:61], v[134:135]
	v_fma_f64 v[48:49], -0.5, v[48:49], v[56:57]
	v_add_f64 v[56:57], v[56:57], v[114:115]
	v_fma_f64 v[114:115], v[60:61], v[132:133], -v[62:63]
	v_add_f64 v[60:61], v[116:117], v[118:119]
	v_lshlrev_b32_e32 v102, 1, v127
	v_fma_f64 v[52:53], s[6:7], v[66:67], v[48:49]
	v_fmac_f64_e32 v[48:49], s[2:3], v[66:67]
	v_add_f64 v[78:79], v[112:113], -v[114:115]
	s_waitcnt lgkmcnt(0)
	v_fma_f64 v[66:67], -0.5, v[60:61], v[122:123]
	v_lshl_add_u64 v[64:65], v[102:103], 4, s[4:5]
	v_fma_f64 v[62:63], s[2:3], v[78:79], v[66:67]
	v_fmac_f64_e32 v[66:67], s[6:7], v[78:79]
	v_add_co_u32_e32 v78, vcc, s10, v64
	v_add_f64 v[56:57], v[56:57], v[128:129]
	s_nop 0
	v_addc_co_u32_e32 v79, vcc, 0, v65, vcc
	ds_read_b64 v[110:111], v179
	ds_read_b64 v[120:121], v177
	;; [unrolled: 1-line block ×3, first 2 shown]
	global_load_dwordx4 v[126:129], v[78:79], off offset:960
	v_lshl_add_u64 v[64:65], v[64:65], 0, s[0:1]
	global_load_dwordx4 v[132:135], v[64:65], off offset:16
	ds_read2_b64 v[136:139], v188 offset0:40 offset1:175
	v_add_f64 v[60:61], v[116:117], v[122:123]
	v_add_f64 v[78:79], v[118:119], v[60:61]
	v_add_f64 v[60:61], v[112:113], v[114:115]
	v_fma_f64 v[64:65], -0.5, v[60:61], v[76:77]
	v_add_f64 v[76:77], v[76:77], v[112:113]
	s_waitcnt vmcnt(4) lgkmcnt(0)
	v_mul_f64 v[112:113], v[74:75], v[138:139]
	v_add_f64 v[102:103], v[116:117], -v[118:119]
	ds_read2_b64 v[116:119], v187 offset0:98 offset1:233
	v_fma_f64 v[122:123], v[38:39], v[72:73], -v[112:113]
	v_add_co_u32_e32 v112, vcc, s10, v98
	v_add_f64 v[76:77], v[76:77], v[114:115]
	s_nop 0
	v_addc_co_u32_e32 v113, vcc, 0, v99, vcc
	global_load_dwordx4 v[112:115], v[112:113], off offset:960
	v_lshl_add_u64 v[98:99], v[98:99], 0, s[0:1]
	global_load_dwordx4 v[140:143], v[98:99], off offset:16
	v_fma_f64 v[60:61], s[6:7], v[102:103], v[64:65]
	v_fmac_f64_e32 v[64:65], s[2:3], v[102:103]
	s_waitcnt lgkmcnt(0)
	v_mul_f64 v[102:103], v[70:71], v[118:119]
	v_fma_f64 v[102:103], v[42:43], v[68:69], -v[102:103]
	v_mul_f64 v[68:69], v[68:69], v[118:119]
	v_fmac_f64_e32 v[68:69], v[42:43], v[70:71]
	v_mul_f64 v[42:43], v[72:73], v[138:139]
	v_fmac_f64_e32 v[42:43], v[38:39], v[74:75]
	v_add_f64 v[38:39], v[68:69], v[42:43]
	v_fma_f64 v[74:75], -0.5, v[38:39], v[90:91]
	v_add_f64 v[38:39], v[68:69], v[90:91]
	v_add_f64 v[90:91], v[42:43], v[38:39]
	;; [unrolled: 1-line block ×3, first 2 shown]
	v_fma_f64 v[72:73], -0.5, v[38:39], v[88:89]
	v_add_f64 v[38:39], v[68:69], -v[42:43]
	v_fma_f64 v[68:69], s[6:7], v[38:39], v[72:73]
	v_fmac_f64_e32 v[72:73], s[2:3], v[38:39]
	v_add_f64 v[38:39], v[88:89], v[102:103]
	v_add_f64 v[88:89], v[38:39], v[122:123]
	s_waitcnt vmcnt(5)
	v_mul_f64 v[38:39], v[82:83], v[116:117]
	v_add_f64 v[144:145], v[102:103], -v[122:123]
	v_fma_f64 v[122:123], v[40:41], v[80:81], -v[38:39]
	v_add_co_u32_e32 v38, vcc, s10, v96
	v_fma_f64 v[70:71], s[2:3], v[144:145], v[74:75]
	s_nop 0
	v_addc_co_u32_e32 v39, vcc, 0, v97, vcc
	v_fmac_f64_e32 v[74:75], s[6:7], v[144:145]
	global_load_dwordx4 v[144:147], v[38:39], off offset:960
	v_lshl_add_u64 v[38:39], v[96:97], 0, s[0:1]
	global_load_dwordx4 v[96:99], v[38:39], off offset:16
	s_waitcnt vmcnt(6)
	v_mul_f64 v[38:39], v[86:87], v[136:137]
	v_fma_f64 v[150:151], v[36:37], v[84:85], -v[38:39]
	v_mul_f64 v[80:81], v[80:81], v[116:117]
	v_mul_f64 v[84:85], v[84:85], v[136:137]
	v_fmac_f64_e32 v[80:81], v[40:41], v[82:83]
	v_fmac_f64_e32 v[84:85], v[36:37], v[86:87]
	v_add_f64 v[36:37], v[80:81], v[84:85]
	v_fma_f64 v[42:43], -0.5, v[36:37], v[110:111]
	v_add_f64 v[36:37], v[80:81], v[110:111]
	v_add_f64 v[82:83], v[84:85], v[36:37]
	v_add_f64 v[80:81], v[80:81], -v[84:85]
	v_add_co_u32_e32 v84, vcc, s10, v100
	v_add_f64 v[102:103], v[122:123], -v[150:151]
	s_nop 0
	v_addc_co_u32_e32 v85, vcc, 0, v101, vcc
	global_load_dwordx4 v[84:87], v[84:85], off offset:960
	v_lshl_add_u64 v[100:101], v[100:101], 0, s[0:1]
	v_fma_f64 v[38:39], s[2:3], v[102:103], v[42:43]
	v_fmac_f64_e32 v[42:43], s[6:7], v[102:103]
	global_load_dwordx4 v[100:103], v[100:101], off offset:16
	ds_read2_b64 v[116:119], v185 offset0:84 offset1:219
	ds_read2_b64 v[136:139], v186 offset0:26 offset1:161
	v_add_f64 v[36:37], v[122:123], v[150:151]
	v_fma_f64 v[40:41], -0.5, v[36:37], v[108:109]
	v_fma_f64 v[36:37], s[6:7], v[80:81], v[40:41]
	v_fmac_f64_e32 v[40:41], s[2:3], v[80:81]
	v_add_f64 v[80:81], v[108:109], v[122:123]
	s_waitcnt vmcnt(7) lgkmcnt(1)
	v_mul_f64 v[108:109], v[128:129], v[118:119]
	v_mul_f64 v[118:119], v[126:127], v[118:119]
	v_add_f64 v[80:81], v[80:81], v[150:151]
	v_fma_f64 v[150:151], v[14:15], v[126:127], -v[108:109]
	v_fmac_f64_e32 v[118:119], v[14:15], v[128:129]
	s_waitcnt vmcnt(6) lgkmcnt(0)
	v_mul_f64 v[14:15], v[132:133], v[138:139]
	v_mul_f64 v[108:109], v[134:135], v[138:139]
	v_fmac_f64_e32 v[14:15], v[10:11], v[134:135]
	v_fma_f64 v[152:153], v[10:11], v[132:133], -v[108:109]
	v_add_f64 v[10:11], v[118:119], v[14:15]
	v_fma_f64 v[110:111], -0.5, v[10:11], v[120:121]
	v_add_f64 v[10:11], v[118:119], v[120:121]
	v_add_f64 v[108:109], v[150:151], -v[152:153]
	v_add_f64 v[128:129], v[14:15], v[10:11]
	v_add_f64 v[10:11], v[150:151], v[152:153]
	v_fma_f64 v[122:123], s[2:3], v[108:109], v[110:111]
	v_fmac_f64_e32 v[110:111], s[6:7], v[108:109]
	v_fma_f64 v[108:109], -0.5, v[10:11], v[106:107]
	v_add_f64 v[10:11], v[118:119], -v[14:15]
	v_fma_f64 v[120:121], s[6:7], v[10:11], v[108:109]
	v_fmac_f64_e32 v[108:109], s[2:3], v[10:11]
	v_add_f64 v[10:11], v[106:107], v[150:151]
	v_add_f64 v[126:127], v[10:11], v[152:153]
	s_waitcnt vmcnt(5)
	v_mul_f64 v[10:11], v[114:115], v[116:117]
	v_fma_f64 v[132:133], v[12:13], v[112:113], -v[10:11]
	s_waitcnt vmcnt(4)
	v_mul_f64 v[10:11], v[142:143], v[136:137]
	v_fma_f64 v[134:135], v[8:9], v[140:141], -v[10:11]
	v_add_u32_e32 v10, v175, v131
	ds_read_b64 v[118:119], v10
	ds_read_b64 v[130:131], v130
	v_mul_f64 v[112:113], v[112:113], v[116:117]
	v_fmac_f64_e32 v[112:113], v[12:13], v[114:115]
	v_mul_f64 v[12:13], v[140:141], v[136:137]
	v_fmac_f64_e32 v[12:13], v[8:9], v[142:143]
	v_add_f64 v[8:9], v[112:113], v[12:13]
	v_add_f64 v[106:107], v[132:133], -v[134:135]
	s_waitcnt lgkmcnt(1)
	v_fma_f64 v[10:11], -0.5, v[8:9], v[118:119]
	v_add_f64 v[8:9], v[112:113], v[118:119]
	v_fma_f64 v[14:15], s[2:3], v[106:107], v[10:11]
	v_fmac_f64_e32 v[10:11], s[6:7], v[106:107]
	v_add_f64 v[106:107], v[12:13], v[8:9]
	v_add_f64 v[8:9], v[132:133], v[134:135]
	v_fma_f64 v[8:9], -0.5, v[8:9], v[104:105]
	v_add_f64 v[116:117], v[112:113], -v[12:13]
	ds_read2_b64 v[112:115], v183 offset0:70 offset1:205
	v_fma_f64 v[12:13], s[6:7], v[116:117], v[8:9]
	v_fmac_f64_e32 v[8:9], s[2:3], v[116:117]
	ds_read2_b64 v[116:119], v184 offset0:12 offset1:147
	v_add_f64 v[104:105], v[104:105], v[132:133]
	s_waitcnt vmcnt(3) lgkmcnt(1)
	v_mul_f64 v[132:133], v[146:147], v[114:115]
	v_mul_f64 v[114:115], v[144:145], v[114:115]
	v_add_f64 v[104:105], v[104:105], v[134:135]
	v_fma_f64 v[134:135], v[6:7], v[144:145], -v[132:133]
	v_fmac_f64_e32 v[114:115], v[6:7], v[146:147]
	s_waitcnt vmcnt(2) lgkmcnt(0)
	v_mul_f64 v[6:7], v[96:97], v[118:119]
	v_mul_f64 v[132:133], v[98:99], v[118:119]
	v_fmac_f64_e32 v[6:7], v[2:3], v[98:99]
	v_fma_f64 v[138:139], v[2:3], v[96:97], -v[132:133]
	v_add_f64 v[2:3], v[114:115], v[6:7]
	v_add_f64 v[136:137], v[134:135], -v[138:139]
	v_fma_f64 v[98:99], -0.5, v[2:3], v[130:131]
	v_add_f64 v[2:3], v[114:115], v[130:131]
	v_fma_f64 v[132:133], s[2:3], v[136:137], v[98:99]
	v_fmac_f64_e32 v[98:99], s[6:7], v[136:137]
	v_add_f64 v[136:137], v[6:7], v[2:3]
	v_add_f64 v[2:3], v[134:135], v[138:139]
	v_fma_f64 v[96:97], -0.5, v[2:3], v[94:95]
	v_add_f64 v[2:3], v[114:115], -v[6:7]
	v_fma_f64 v[130:131], s[6:7], v[2:3], v[96:97]
	v_fmac_f64_e32 v[96:97], s[2:3], v[2:3]
	v_add_f64 v[2:3], v[94:95], v[134:135]
	v_add_f64 v[134:135], v[2:3], v[138:139]
	s_waitcnt vmcnt(1)
	v_mul_f64 v[2:3], v[86:87], v[112:113]
	v_fma_f64 v[94:95], v[4:5], v[84:85], -v[2:3]
	v_mul_f64 v[84:85], v[84:85], v[112:113]
	v_fmac_f64_e32 v[84:85], v[4:5], v[86:87]
	s_waitcnt vmcnt(0)
	v_mul_f64 v[4:5], v[100:101], v[116:117]
	v_mul_f64 v[2:3], v[102:103], v[116:117]
	v_fmac_f64_e32 v[4:5], v[0:1], v[102:103]
	v_fma_f64 v[114:115], v[0:1], v[100:101], -v[2:3]
	v_add_f64 v[0:1], v[84:85], v[4:5]
	v_fma_f64 v[2:3], -0.5, v[0:1], v[148:149]
	v_add_f64 v[0:1], v[84:85], v[148:149]
	v_add_f64 v[86:87], v[4:5], v[0:1]
	v_add_f64 v[0:1], v[94:95], v[114:115]
	v_fma_f64 v[0:1], -0.5, v[0:1], v[92:93]
	v_add_f64 v[84:85], v[84:85], -v[4:5]
	v_fma_f64 v[4:5], s[6:7], v[84:85], v[0:1]
	v_fmac_f64_e32 v[0:1], s[2:3], v[84:85]
	v_add_f64 v[84:85], v[92:93], v[94:95]
	v_mad_u64_u32 v[92:93], s[0:1], s8, v172, 0
	v_add_f64 v[118:119], v[94:95], -v[114:115]
	v_mov_b32_e32 v94, v93
	v_mad_u64_u32 v[94:95], s[0:1], s9, v172, v[94:95]
	v_mov_b32_e32 v93, v94
	v_add_f64 v[84:85], v[84:85], v[114:115]
	v_lshl_add_u64 v[92:93], v[92:93], 4, v[124:125]
	global_store_dwordx4 v[92:93], v[84:87], off
	v_fma_f64 v[6:7], s[2:3], v[118:119], v[2:3]
	v_fmac_f64_e32 v[2:3], s[6:7], v[118:119]
	v_add_u32_e32 v87, 0x546, v172
	v_mad_u64_u32 v[84:85], s[0:1], s8, v87, 0
	v_mov_b32_e32 v86, v85
	v_mad_u64_u32 v[86:87], s[0:1], s9, v87, v[86:87]
	v_mov_b32_e32 v85, v86
	v_lshl_add_u64 v[84:85], v[84:85], 4, v[124:125]
	global_store_dwordx4 v[84:85], v[0:3], off
	s_mov_b32 s1, 0xc22e4507
	s_movk_i32 s0, 0xa8c
	v_add_u32_e32 v3, 0xa8c, v172
	v_mad_u64_u32 v[0:1], s[2:3], s8, v3, 0
	v_mov_b32_e32 v2, v1
	v_mad_u64_u32 v[2:3], s[2:3], s9, v3, v[2:3]
	v_mov_b32_e32 v1, v2
	v_lshl_add_u64 v[0:1], v[0:1], 4, v[124:125]
	v_add_u32_e32 v3, 0x87, v172
	global_store_dwordx4 v[0:1], v[4:7], off
	v_mad_u64_u32 v[0:1], s[2:3], s8, v3, 0
	v_mov_b32_e32 v2, v1
	v_mad_u64_u32 v[2:3], s[2:3], s9, v3, v[2:3]
	v_mov_b32_e32 v1, v2
	v_lshl_add_u64 v[0:1], v[0:1], 4, v[124:125]
	v_add_u32_e32 v3, 0x5cd, v172
	global_store_dwordx4 v[0:1], v[134:137], off
	;; [unrolled: 7-line block ×15, first 2 shown]
	v_mad_u64_u32 v[0:1], s[2:3], s8, v3, 0
	v_mov_b32_e32 v2, v1
	v_mad_u64_u32 v[2:3], s[2:3], s9, v3, v[2:3]
	v_mov_b32_e32 v1, v2
	v_lshl_add_u64 v[0:1], v[0:1], 4, v[124:125]
	global_store_dwordx4 v[0:1], v[68:71], off
	v_add_u32_e32 v0, 0x32a, v172
	v_mul_hi_u32 v1, v0, s1
	v_lshrrev_b32_e32 v1, 10, v1
	v_mad_u32_u24 v4, v1, s0, v0
	v_mad_u64_u32 v[0:1], s[2:3], s8, v4, 0
	v_mov_b32_e32 v2, v1
	v_mad_u64_u32 v[2:3], s[2:3], s9, v4, v[2:3]
	v_mov_b32_e32 v1, v2
	v_lshl_add_u64 v[0:1], v[0:1], 4, v[124:125]
	v_add_u32_e32 v3, 0x546, v4
	global_store_dwordx4 v[0:1], v[76:79], off
	v_mad_u64_u32 v[0:1], s[2:3], s8, v3, 0
	v_mov_b32_e32 v2, v1
	v_mad_u64_u32 v[2:3], s[2:3], s9, v3, v[2:3]
	v_mov_b32_e32 v1, v2
	v_lshl_add_u64 v[0:1], v[0:1], 4, v[124:125]
	v_add_u32_e32 v3, 0xa8c, v4
	global_store_dwordx4 v[0:1], v[64:67], off
	v_mad_u64_u32 v[0:1], s[2:3], s8, v3, 0
	v_mov_b32_e32 v2, v1
	v_mad_u64_u32 v[2:3], s[2:3], s9, v3, v[2:3]
	v_mov_b32_e32 v1, v2
	v_lshl_add_u64 v[0:1], v[0:1], 4, v[124:125]
	global_store_dwordx4 v[0:1], v[60:63], off
	v_add_u32_e32 v0, 0x3b1, v172
	v_mul_hi_u32 v1, v0, s1
	v_lshrrev_b32_e32 v1, 10, v1
	v_mad_u32_u24 v4, v1, s0, v0
	v_mad_u64_u32 v[0:1], s[2:3], s8, v4, 0
	v_mov_b32_e32 v2, v1
	v_mad_u64_u32 v[2:3], s[2:3], s9, v4, v[2:3]
	v_mov_b32_e32 v1, v2
	v_lshl_add_u64 v[0:1], v[0:1], 4, v[124:125]
	v_add_u32_e32 v3, 0x546, v4
	global_store_dwordx4 v[0:1], v[56:59], off
	v_mad_u64_u32 v[0:1], s[2:3], s8, v3, 0
	v_mov_b32_e32 v2, v1
	v_mad_u64_u32 v[2:3], s[2:3], s9, v3, v[2:3]
	v_mov_b32_e32 v1, v2
	v_lshl_add_u64 v[0:1], v[0:1], 4, v[124:125]
	v_add_u32_e32 v3, 0xa8c, v4
	global_store_dwordx4 v[0:1], v[48:51], off
	;; [unrolled: 24-line block ×4, first 2 shown]
	v_mad_u64_u32 v[0:1], s[0:1], s8, v3, 0
	v_mov_b32_e32 v2, v1
	v_mad_u64_u32 v[2:3], s[0:1], s9, v3, v[2:3]
	v_mov_b32_e32 v1, v2
	v_lshl_add_u64 v[0:1], v[0:1], 4, v[124:125]
	global_store_dwordx4 v[0:1], v[16:19], off
.LBB0_15:
	s_endpgm
	.section	.rodata,"a",@progbits
	.p2align	6, 0x0
	.amdhsa_kernel fft_rtc_fwd_len4050_factors_10_5_3_3_3_3_wgs_135_tpt_135_halfLds_dp_ip_CI_sbrr_dirReg
		.amdhsa_group_segment_fixed_size 0
		.amdhsa_private_segment_fixed_size 0
		.amdhsa_kernarg_size 88
		.amdhsa_user_sgpr_count 2
		.amdhsa_user_sgpr_dispatch_ptr 0
		.amdhsa_user_sgpr_queue_ptr 0
		.amdhsa_user_sgpr_kernarg_segment_ptr 1
		.amdhsa_user_sgpr_dispatch_id 0
		.amdhsa_user_sgpr_kernarg_preload_length 0
		.amdhsa_user_sgpr_kernarg_preload_offset 0
		.amdhsa_user_sgpr_private_segment_size 0
		.amdhsa_uses_dynamic_stack 0
		.amdhsa_enable_private_segment 0
		.amdhsa_system_sgpr_workgroup_id_x 1
		.amdhsa_system_sgpr_workgroup_id_y 0
		.amdhsa_system_sgpr_workgroup_id_z 0
		.amdhsa_system_sgpr_workgroup_info 0
		.amdhsa_system_vgpr_workitem_id 0
		.amdhsa_next_free_vgpr 227
		.amdhsa_next_free_sgpr 24
		.amdhsa_accum_offset 228
		.amdhsa_reserve_vcc 1
		.amdhsa_float_round_mode_32 0
		.amdhsa_float_round_mode_16_64 0
		.amdhsa_float_denorm_mode_32 3
		.amdhsa_float_denorm_mode_16_64 3
		.amdhsa_dx10_clamp 1
		.amdhsa_ieee_mode 1
		.amdhsa_fp16_overflow 0
		.amdhsa_tg_split 0
		.amdhsa_exception_fp_ieee_invalid_op 0
		.amdhsa_exception_fp_denorm_src 0
		.amdhsa_exception_fp_ieee_div_zero 0
		.amdhsa_exception_fp_ieee_overflow 0
		.amdhsa_exception_fp_ieee_underflow 0
		.amdhsa_exception_fp_ieee_inexact 0
		.amdhsa_exception_int_div_zero 0
	.end_amdhsa_kernel
	.text
.Lfunc_end0:
	.size	fft_rtc_fwd_len4050_factors_10_5_3_3_3_3_wgs_135_tpt_135_halfLds_dp_ip_CI_sbrr_dirReg, .Lfunc_end0-fft_rtc_fwd_len4050_factors_10_5_3_3_3_3_wgs_135_tpt_135_halfLds_dp_ip_CI_sbrr_dirReg
                                        ; -- End function
	.section	.AMDGPU.csdata,"",@progbits
; Kernel info:
; codeLenInByte = 23680
; NumSgprs: 30
; NumVgprs: 227
; NumAgprs: 0
; TotalNumVgprs: 227
; ScratchSize: 0
; MemoryBound: 1
; FloatMode: 240
; IeeeMode: 1
; LDSByteSize: 0 bytes/workgroup (compile time only)
; SGPRBlocks: 3
; VGPRBlocks: 28
; NumSGPRsForWavesPerEU: 30
; NumVGPRsForWavesPerEU: 227
; AccumOffset: 228
; Occupancy: 2
; WaveLimiterHint : 1
; COMPUTE_PGM_RSRC2:SCRATCH_EN: 0
; COMPUTE_PGM_RSRC2:USER_SGPR: 2
; COMPUTE_PGM_RSRC2:TRAP_HANDLER: 0
; COMPUTE_PGM_RSRC2:TGID_X_EN: 1
; COMPUTE_PGM_RSRC2:TGID_Y_EN: 0
; COMPUTE_PGM_RSRC2:TGID_Z_EN: 0
; COMPUTE_PGM_RSRC2:TIDIG_COMP_CNT: 0
; COMPUTE_PGM_RSRC3_GFX90A:ACCUM_OFFSET: 56
; COMPUTE_PGM_RSRC3_GFX90A:TG_SPLIT: 0
	.text
	.p2alignl 6, 3212836864
	.fill 256, 4, 3212836864
	.type	__hip_cuid_a0baefd90fcb17aa,@object ; @__hip_cuid_a0baefd90fcb17aa
	.section	.bss,"aw",@nobits
	.globl	__hip_cuid_a0baefd90fcb17aa
__hip_cuid_a0baefd90fcb17aa:
	.byte	0                               ; 0x0
	.size	__hip_cuid_a0baefd90fcb17aa, 1

	.ident	"AMD clang version 19.0.0git (https://github.com/RadeonOpenCompute/llvm-project roc-6.4.0 25133 c7fe45cf4b819c5991fe208aaa96edf142730f1d)"
	.section	".note.GNU-stack","",@progbits
	.addrsig
	.addrsig_sym __hip_cuid_a0baefd90fcb17aa
	.amdgpu_metadata
---
amdhsa.kernels:
  - .agpr_count:     0
    .args:
      - .actual_access:  read_only
        .address_space:  global
        .offset:         0
        .size:           8
        .value_kind:     global_buffer
      - .offset:         8
        .size:           8
        .value_kind:     by_value
      - .actual_access:  read_only
        .address_space:  global
        .offset:         16
        .size:           8
        .value_kind:     global_buffer
      - .actual_access:  read_only
        .address_space:  global
        .offset:         24
        .size:           8
        .value_kind:     global_buffer
      - .offset:         32
        .size:           8
        .value_kind:     by_value
      - .actual_access:  read_only
        .address_space:  global
        .offset:         40
        .size:           8
        .value_kind:     global_buffer
      - .actual_access:  read_only
        .address_space:  global
        .offset:         48
        .size:           8
        .value_kind:     global_buffer
      - .offset:         56
        .size:           4
        .value_kind:     by_value
      - .actual_access:  read_only
        .address_space:  global
        .offset:         64
        .size:           8
        .value_kind:     global_buffer
      - .actual_access:  read_only
        .address_space:  global
        .offset:         72
        .size:           8
        .value_kind:     global_buffer
      - .address_space:  global
        .offset:         80
        .size:           8
        .value_kind:     global_buffer
    .group_segment_fixed_size: 0
    .kernarg_segment_align: 8
    .kernarg_segment_size: 88
    .language:       OpenCL C
    .language_version:
      - 2
      - 0
    .max_flat_workgroup_size: 135
    .name:           fft_rtc_fwd_len4050_factors_10_5_3_3_3_3_wgs_135_tpt_135_halfLds_dp_ip_CI_sbrr_dirReg
    .private_segment_fixed_size: 0
    .sgpr_count:     30
    .sgpr_spill_count: 0
    .symbol:         fft_rtc_fwd_len4050_factors_10_5_3_3_3_3_wgs_135_tpt_135_halfLds_dp_ip_CI_sbrr_dirReg.kd
    .uniform_work_group_size: 1
    .uses_dynamic_stack: false
    .vgpr_count:     227
    .vgpr_spill_count: 0
    .wavefront_size: 64
amdhsa.target:   amdgcn-amd-amdhsa--gfx950
amdhsa.version:
  - 1
  - 2
...

	.end_amdgpu_metadata
